;; amdgpu-corpus repo=ROCm/rocFFT kind=compiled arch=gfx1201 opt=O3
	.text
	.amdgcn_target "amdgcn-amd-amdhsa--gfx1201"
	.amdhsa_code_object_version 6
	.protected	bluestein_single_fwd_len765_dim1_half_op_CI_CI ; -- Begin function bluestein_single_fwd_len765_dim1_half_op_CI_CI
	.globl	bluestein_single_fwd_len765_dim1_half_op_CI_CI
	.p2align	8
	.type	bluestein_single_fwd_len765_dim1_half_op_CI_CI,@function
bluestein_single_fwd_len765_dim1_half_op_CI_CI: ; @bluestein_single_fwd_len765_dim1_half_op_CI_CI
; %bb.0:
	s_load_b128 s[8:11], s[0:1], 0x28
	v_mul_u32_u24_e32 v1, 0x506, v0
	s_mov_b32 s2, exec_lo
	s_delay_alu instid0(VALU_DEP_1) | instskip(NEXT) | instid1(VALU_DEP_1)
	v_lshrrev_b32_e32 v1, 16, v1
	v_mad_co_u64_u32 v[8:9], null, ttmp9, 5, v[1:2]
	v_mov_b32_e32 v9, 0
                                        ; kill: def $vgpr2 killed $sgpr0 killed $exec
	s_wait_kmcnt 0x0
	s_delay_alu instid0(VALU_DEP_1)
	v_cmpx_gt_u64_e64 s[8:9], v[8:9]
	s_cbranch_execz .LBB0_15
; %bb.1:
	v_mul_hi_u32 v2, 0xcccccccd, v8
	s_clause 0x1
	s_load_b64 s[8:9], s[0:1], 0x0
	s_load_b64 s[12:13], s[0:1], 0x38
	v_mul_lo_u16 v1, v1, 51
	s_delay_alu instid0(VALU_DEP_1) | instskip(NEXT) | instid1(VALU_DEP_3)
	v_sub_nc_u16 v0, v0, v1
	v_lshrrev_b32_e32 v2, 2, v2
	s_delay_alu instid0(VALU_DEP_2) | instskip(NEXT) | instid1(VALU_DEP_2)
	v_and_b32_e32 v47, 0xffff, v0
	v_lshl_add_u32 v2, v2, 2, v2
	v_cmp_gt_u16_e32 vcc_lo, 45, v0
	s_delay_alu instid0(VALU_DEP_3) | instskip(NEXT) | instid1(VALU_DEP_3)
	v_lshlrev_b32_e32 v45, 2, v47
	v_sub_nc_u32_e32 v1, v8, v2
	s_delay_alu instid0(VALU_DEP_1) | instskip(NEXT) | instid1(VALU_DEP_1)
	v_mul_u32_u24_e32 v46, 0x2fd, v1
	v_lshlrev_b32_e32 v48, 2, v46
	s_and_saveexec_b32 s3, vcc_lo
	s_cbranch_execz .LBB0_3
; %bb.2:
	s_load_b64 s[4:5], s[0:1], 0x18
	s_wait_kmcnt 0x0
	s_load_b128 s[4:7], s[4:5], 0x0
	s_wait_kmcnt 0x0
	v_mad_co_u64_u32 v[0:1], null, s6, v8, 0
	v_mad_co_u64_u32 v[2:3], null, s4, v47, 0
	s_delay_alu instid0(VALU_DEP_1) | instskip(NEXT) | instid1(VALU_DEP_1)
	v_mad_co_u64_u32 v[4:5], null, s7, v8, v[1:2]
	v_mad_co_u64_u32 v[5:6], null, s5, v47, v[3:4]
	v_mov_b32_e32 v1, v4
	s_mul_u64 s[4:5], s[4:5], 0xb4
	s_clause 0x7
	global_load_b32 v6, v45, s[8:9]
	global_load_b32 v7, v45, s[8:9] offset:180
	global_load_b32 v9, v45, s[8:9] offset:360
	;; [unrolled: 1-line block ×7, first 2 shown]
	v_lshlrev_b64_e32 v[0:1], 2, v[0:1]
	v_mov_b32_e32 v3, v5
	s_delay_alu instid0(VALU_DEP_2) | instskip(NEXT) | instid1(VALU_DEP_2)
	v_add_co_u32 v0, s2, s10, v0
	v_lshlrev_b64_e32 v[2:3], 2, v[2:3]
	s_delay_alu instid0(VALU_DEP_4) | instskip(NEXT) | instid1(VALU_DEP_2)
	v_add_co_ci_u32_e64 v1, s2, s11, v1, s2
	v_add_co_u32 v0, s2, v0, v2
	s_wait_alu 0xf1ff
	s_delay_alu instid0(VALU_DEP_2)
	v_add_co_ci_u32_e64 v1, s2, v1, v3, s2
	global_load_b32 v15, v[0:1], off
	s_wait_alu 0xfffe
	v_add_co_u32 v0, s2, v0, s4
	s_wait_alu 0xf1ff
	v_add_co_ci_u32_e64 v1, s2, s5, v1, s2
	s_clause 0x7
	global_load_b32 v16, v45, s[8:9] offset:1440
	global_load_b32 v17, v45, s[8:9] offset:1620
	;; [unrolled: 1-line block ×8, first 2 shown]
	global_load_b32 v24, v[0:1], off
	v_add_co_u32 v0, s2, v0, s4
	s_wait_alu 0xf1ff
	v_add_co_ci_u32_e64 v1, s2, s5, v1, s2
	global_load_b32 v25, v45, s[8:9] offset:2880
	v_add_co_u32 v2, s2, v0, s4
	s_wait_alu 0xf1ff
	v_add_co_ci_u32_e64 v3, s2, s5, v1, s2
	global_load_b32 v26, v[0:1], off
	v_add_co_u32 v0, s2, v2, s4
	s_wait_alu 0xf1ff
	v_add_co_ci_u32_e64 v1, s2, s5, v3, s2
	s_clause 0x1
	global_load_b32 v27, v[2:3], off
	global_load_b32 v28, v[0:1], off
	v_add_co_u32 v0, s2, v0, s4
	s_wait_alu 0xf1ff
	v_add_co_ci_u32_e64 v1, s2, s5, v1, s2
	s_delay_alu instid0(VALU_DEP_2) | instskip(SKIP_1) | instid1(VALU_DEP_2)
	v_add_co_u32 v2, s2, v0, s4
	s_wait_alu 0xf1ff
	v_add_co_ci_u32_e64 v3, s2, s5, v1, s2
	global_load_b32 v29, v[0:1], off
	global_load_b32 v30, v[2:3], off
	v_add_co_u32 v0, s2, v2, s4
	s_wait_alu 0xf1ff
	v_add_co_ci_u32_e64 v1, s2, s5, v3, s2
	s_delay_alu instid0(VALU_DEP_2) | instskip(SKIP_1) | instid1(VALU_DEP_2)
	v_add_co_u32 v2, s2, v0, s4
	s_wait_alu 0xf1ff
	v_add_co_ci_u32_e64 v3, s2, s5, v1, s2
	global_load_b32 v31, v[0:1], off
	v_add_co_u32 v0, s2, v2, s4
	s_wait_alu 0xf1ff
	v_add_co_ci_u32_e64 v1, s2, s5, v3, s2
	global_load_b32 v32, v[2:3], off
	global_load_b32 v33, v[0:1], off
	v_add_co_u32 v0, s2, v0, s4
	s_wait_alu 0xf1ff
	v_add_co_ci_u32_e64 v1, s2, s5, v1, s2
	s_delay_alu instid0(VALU_DEP_2) | instskip(SKIP_1) | instid1(VALU_DEP_2)
	v_add_co_u32 v2, s2, v0, s4
	s_wait_alu 0xf1ff
	v_add_co_ci_u32_e64 v3, s2, s5, v1, s2
	global_load_b32 v34, v[0:1], off
	v_add_co_u32 v0, s2, v2, s4
	s_wait_alu 0xf1ff
	v_add_co_ci_u32_e64 v1, s2, s5, v3, s2
	global_load_b32 v35, v[2:3], off
	;; [unrolled: 4-line block ×4, first 2 shown]
	v_add_co_u32 v2, s2, v0, s4
	s_wait_alu 0xf1ff
	v_add_co_ci_u32_e64 v3, s2, s5, v1, s2
	s_delay_alu instid0(VALU_DEP_2) | instskip(SKIP_1) | instid1(VALU_DEP_2)
	v_add_co_u32 v4, s2, v2, s4
	s_wait_alu 0xf1ff
	v_add_co_ci_u32_e64 v5, s2, s5, v3, s2
	global_load_b32 v0, v[0:1], off
	global_load_b32 v1, v[2:3], off
	;; [unrolled: 1-line block ×3, first 2 shown]
	v_lshl_add_u32 v4, v47, 2, v48
	v_add_nc_u32_e32 v3, v48, v45
	s_delay_alu instid0(VALU_DEP_1)
	v_add_nc_u32_e32 v38, 0x400, v3
	v_add_nc_u32_e32 v5, 0x200, v3
	;; [unrolled: 1-line block ×3, first 2 shown]
	s_wait_loadcnt 0x21
	v_lshrrev_b32_e32 v40, 16, v6
	s_wait_loadcnt 0x20
	v_lshrrev_b32_e32 v41, 16, v7
	;; [unrolled: 2-line block ×11, first 2 shown]
	v_lshrrev_b32_e32 v57, 16, v15
	v_mul_f16_e32 v60, v40, v15
	s_wait_loadcnt 0x15
	v_lshrrev_b32_e32 v55, 16, v19
	s_wait_loadcnt 0x14
	v_lshrrev_b32_e32 v56, 16, v20
	;; [unrolled: 2-line block ×3, first 2 shown]
	v_mul_f16_e32 v40, v40, v57
	s_wait_loadcnt 0x10
	v_lshrrev_b32_e32 v62, 16, v24
	v_fma_f16 v57, v6, v57, -v60
	v_mul_f16_e32 v60, v41, v24
	v_lshrrev_b32_e32 v59, 16, v22
	v_fmac_f16_e32 v40, v6, v15
	v_mul_f16_e32 v6, v41, v62
	v_lshrrev_b32_e32 v61, 16, v23
	v_fma_f16 v60, v7, v62, -v60
	s_wait_loadcnt 0xf
	v_lshrrev_b32_e32 v63, 16, v25
	s_wait_loadcnt 0xe
	v_lshrrev_b32_e32 v15, 16, v26
	v_mul_f16_e32 v41, v42, v26
	v_pack_b32_f16 v40, v40, v57
	v_fmac_f16_e32 v6, v7, v24
	s_delay_alu instid0(VALU_DEP_4)
	v_mul_f16_e32 v7, v42, v15
	s_wait_loadcnt 0xd
	v_lshrrev_b32_e32 v24, 16, v27
	v_fma_f16 v15, v9, v15, -v41
	v_mul_f16_e32 v41, v43, v27
	ds_store_b32 v4, v40
	v_pack_b32_f16 v4, v6, v60
	v_fmac_f16_e32 v7, v9, v26
	v_mul_f16_e32 v6, v43, v24
	s_wait_loadcnt 0xc
	v_lshrrev_b32_e32 v9, 16, v28
	v_mul_f16_e32 v26, v44, v28
	v_fma_f16 v24, v10, v24, -v41
	v_pack_b32_f16 v7, v7, v15
	v_fmac_f16_e32 v6, v10, v27
	v_mul_f16_e32 v10, v44, v9
	s_wait_loadcnt 0xb
	v_lshrrev_b32_e32 v15, 16, v29
	v_fma_f16 v9, v11, v9, -v26
	v_mul_f16_e32 v26, v49, v29
	ds_store_2addr_b32 v3, v4, v7 offset0:45 offset1:90
	v_pack_b32_f16 v4, v6, v24
	v_fmac_f16_e32 v10, v11, v28
	v_mul_f16_e32 v6, v49, v15
	s_wait_loadcnt 0xa
	v_lshrrev_b32_e32 v7, 16, v30
	v_mul_f16_e32 v11, v50, v30
	v_fma_f16 v15, v12, v15, -v26
	v_pack_b32_f16 v9, v10, v9
	v_fmac_f16_e32 v6, v12, v29
	v_mul_f16_e32 v10, v50, v7
	v_fma_f16 v7, v13, v7, -v11
	s_wait_loadcnt 0x9
	v_lshrrev_b32_e32 v11, 16, v31
	v_mul_f16_e32 v12, v51, v31
	ds_store_2addr_b32 v3, v4, v9 offset0:135 offset1:180
	v_pack_b32_f16 v4, v6, v15
	v_fmac_f16_e32 v10, v13, v30
	v_mul_f16_e32 v6, v51, v11
	s_wait_loadcnt 0x8
	v_lshrrev_b32_e32 v9, 16, v32
	v_mul_f16_e32 v13, v52, v32
	v_fma_f16 v11, v14, v11, -v12
	v_pack_b32_f16 v7, v10, v7
	v_fmac_f16_e32 v6, v14, v31
	v_mul_f16_e32 v10, v52, v9
	s_wait_loadcnt 0x7
	v_lshrrev_b32_e32 v12, 16, v33
	v_fma_f16 v9, v16, v9, -v13
	ds_store_2addr_b32 v5, v4, v7 offset0:97 offset1:142
	v_pack_b32_f16 v4, v6, v11
	v_fmac_f16_e32 v10, v16, v32
	s_wait_loadcnt 0x6
	v_lshrrev_b32_e32 v6, 16, v34
	v_mul_f16_e32 v13, v53, v33
	v_mul_f16_e32 v5, v53, v12
	;; [unrolled: 1-line block ×3, first 2 shown]
	v_pack_b32_f16 v9, v10, v9
	v_mul_f16_e32 v10, v54, v6
	v_fma_f16 v7, v17, v12, -v13
	v_fmac_f16_e32 v5, v17, v33
	s_wait_loadcnt 0x5
	v_lshrrev_b32_e32 v12, 16, v35
	v_fma_f16 v6, v18, v6, -v11
	v_mul_f16_e32 v11, v55, v35
	v_fmac_f16_e32 v10, v18, v34
	s_wait_loadcnt 0x4
	v_lshrrev_b32_e32 v13, 16, v36
	v_pack_b32_f16 v5, v5, v7
	v_mul_f16_e32 v7, v55, v12
	v_fma_f16 v11, v19, v12, -v11
	v_mul_f16_e32 v12, v56, v36
	v_pack_b32_f16 v6, v10, v6
	v_mul_f16_e32 v10, v56, v13
	v_fmac_f16_e32 v7, v19, v35
	s_wait_loadcnt 0x3
	v_lshrrev_b32_e32 v14, 16, v37
	v_mul_f16_e32 v15, v58, v37
	v_fma_f16 v12, v20, v13, -v12
	v_fmac_f16_e32 v10, v20, v36
	v_pack_b32_f16 v7, v7, v11
	v_mul_f16_e32 v11, v58, v14
	v_fma_f16 v13, v21, v14, -v15
	s_wait_loadcnt 0x2
	v_lshrrev_b32_e32 v14, 16, v0
	v_mul_f16_e32 v15, v59, v0
	v_pack_b32_f16 v10, v10, v12
	s_wait_loadcnt 0x1
	v_lshrrev_b32_e32 v12, 16, v1
	s_wait_loadcnt 0x0
	v_lshrrev_b32_e32 v16, 16, v2
	v_mul_f16_e32 v17, v59, v14
	v_fma_f16 v14, v22, v14, -v15
	v_mul_f16_e32 v15, v61, v1
	v_mul_f16_e32 v18, v61, v12
	;; [unrolled: 1-line block ×4, first 2 shown]
	v_fmac_f16_e32 v11, v21, v37
	v_fmac_f16_e32 v17, v22, v0
	v_fma_f16 v0, v23, v12, -v15
	v_fmac_f16_e32 v18, v23, v1
	v_fmac_f16_e32 v19, v25, v2
	v_fma_f16 v1, v25, v16, -v20
	v_pack_b32_f16 v2, v11, v13
	v_pack_b32_f16 v11, v17, v14
	v_add_nc_u32_e32 v3, 0x800, v3
	v_pack_b32_f16 v0, v18, v0
	v_pack_b32_f16 v1, v19, v1
	ds_store_2addr_b32 v38, v4, v9 offset0:59 offset1:104
	ds_store_2addr_b32 v38, v5, v6 offset0:149 offset1:194
	;; [unrolled: 1-line block ×5, first 2 shown]
.LBB0_3:
	s_or_b32 exec_lo, exec_lo, s3
	s_clause 0x1
	s_load_b64 s[4:5], s[0:1], 0x20
	s_load_b64 s[2:3], s[0:1], 0x8
	v_mov_b32_e32 v11, 0
                                        ; kill: def $vgpr0 killed $sgpr0 killed $exec
	global_wb scope:SCOPE_SE
	s_wait_dscnt 0x0
	s_wait_kmcnt 0x0
	s_barrier_signal -1
	s_barrier_wait -1
	global_inv scope:SCOPE_SE
                                        ; implicit-def: $vgpr17
                                        ; implicit-def: $vgpr1
                                        ; implicit-def: $vgpr3
                                        ; implicit-def: $vgpr5
                                        ; implicit-def: $vgpr7
                                        ; implicit-def: $vgpr10
                                        ; implicit-def: $vgpr14
                                        ; implicit-def: $vgpr16
                                        ; implicit-def: $vgpr92
	s_and_saveexec_b32 s0, vcc_lo
	s_cbranch_execz .LBB0_5
; %bb.4:
	v_lshl_add_u32 v17, v46, 2, v45
	ds_load_2addr_b32 v[11:12], v17 offset1:45
	ds_load_2addr_b32 v[15:16], v17 offset0:90 offset1:135
	v_add_nc_u32_e32 v0, 0x400, v17
	v_add_nc_u32_e32 v1, 0x800, v17
	ds_load_2addr_b32 v[13:14], v17 offset0:180 offset1:225
	ds_load_2addr_b32 v[9:10], v0 offset0:14 offset1:59
	;; [unrolled: 1-line block ×6, first 2 shown]
	ds_load_b32 v17, v17 offset:2880
	s_wait_dscnt 0x7
	v_alignbit_b32 v92, v15, v15, 16
.LBB0_5:
	s_wait_alu 0xfffe
	s_or_b32 exec_lo, exec_lo, s0
	s_wait_dscnt 0x0
	v_pk_add_f16 v15, v12, v17 neg_lo:[0,1] neg_hi:[0,1]
	v_pk_add_f16 v22, v92, v1 op_sel:[1,0] op_sel_hi:[0,1] neg_lo:[0,1] neg_hi:[0,1]
	v_pk_add_f16 v21, v17, v12
	v_pk_add_f16 v18, v1, v92 op_sel:[1,0] op_sel_hi:[0,1]
	v_pk_add_f16 v19, v16, v0 neg_lo:[0,1] neg_hi:[0,1]
	v_lshrrev_b32_e32 v71, 16, v15
	v_lshrrev_b32_e32 v74, 16, v22
	v_pk_mul_f16 v23, 0x3b7639e9, v21
	v_lshrrev_b32_e32 v35, 16, v21
	v_mul_f16_e32 v73, 0xb964, v15
	v_mul_f16_e32 v59, 0xb5c8, v71
	v_lshrrev_b32_e32 v33, 16, v18
	v_mul_f16_e32 v60, 0xb964, v74
	v_lshrrev_b32_e32 v75, 16, v19
	v_lshrrev_b32_e32 v31, 16, v11
	v_fmamk_f16 v24, v21, 0x3b76, v59
	v_pk_add_f16 v20, v0, v16
	v_pk_mul_f16 v25, 0xbbf7b964, v22
	v_mul_f16_e32 v76, 0xbbf7, v22
	v_fma_f16 v26, v35, 0x39e9, -v73
	v_fmamk_f16 v27, v33, 0x39e9, v60
	v_add_f16_e32 v24, v24, v11
	v_pk_fma_f16 v42, 0xb964b5c8, v15, v23 op_sel:[0,0,1] op_sel_hi:[1,1,0] neg_lo:[0,1,0] neg_hi:[0,1,0]
	v_pk_fma_f16 v43, 0xb964b5c8, v15, v23 op_sel:[0,0,1] op_sel_hi:[1,1,0]
	v_pk_add_f16 v23, v13, v3 neg_lo:[0,1] neg_hi:[0,1]
	v_mul_f16_e32 v61, 0xbb29, v75
	v_add_f16_e32 v26, v26, v31
	v_add_f16_e32 v27, v27, v24
	v_pk_fma_f16 v44, 0x2de839e9, v18, v25 neg_lo:[0,0,1] neg_hi:[0,0,1]
	v_pk_fma_f16 v50, 0x2de839e9, v18, v25
	v_fma_f16 v25, v18, 0x2de8, -v76
	v_lshrrev_b32_e32 v78, 16, v23
	v_fmamk_f16 v28, v20, 0x3722, v61
	v_lshrrev_b32_e32 v37, 16, v20
	v_mul_f16_e32 v79, 0xba62, v19
	v_pk_add_f16 v24, v3, v13
	v_mul_f16_e32 v62, 0xbbf7, v78
	v_pk_mul_f16 v29, 0x3722b8d2, v20
	v_add_f16_e32 v26, v25, v26
	v_add_f16_e32 v27, v28, v27
	v_fma_f16 v28, v37, 0xb8d2, -v79
	v_pk_add_f16 v25, v14, v2 neg_lo:[0,1] neg_hi:[0,1]
	v_fmamk_f16 v30, v24, 0x2de8, v62
	v_pk_fma_f16 v55, 0xba62bb29, v19, v29 op_sel:[0,0,1] op_sel_hi:[1,1,0] neg_lo:[0,1,0] neg_hi:[0,1,0]
	v_pk_fma_f16 v56, 0xba62bb29, v19, v29 op_sel:[0,0,1] op_sel_hi:[1,1,0]
	v_add_f16_e32 v29, v28, v26
	v_lshrrev_b32_e32 v80, 16, v25
	v_pk_add_f16 v26, v9, v5 neg_lo:[0,1] neg_hi:[0,1]
	v_add_f16_e32 v30, v30, v27
	v_pk_mul_f16 v28, 0x2de8bbdd, v24
	v_lshrrev_b32_e32 v36, 16, v24
	v_mul_f16_e32 v85, 0xb1e1, v23
	v_pk_add_f16 v27, v2, v14
	v_mul_f16_e32 v69, 0xbbb2, v80
	v_lshrrev_b32_e32 v83, 16, v26
	v_pk_fma_f16 v57, 0xb1e1bbf7, v23, v28 op_sel:[0,0,1] op_sel_hi:[1,1,0] neg_lo:[0,1,0] neg_hi:[0,1,0]
	v_pk_fma_f16 v58, 0xb1e1bbf7, v23, v28 op_sel:[0,0,1] op_sel_hi:[1,1,0]
	v_fma_f16 v32, v36, 0xbbdd, -v85
	v_fmamk_f16 v34, v27, 0xb461, v69
	v_lshrrev_b32_e32 v38, 16, v27
	v_mul_f16_e32 v86, 0x3836, v25
	v_pk_add_f16 v28, v5, v9
	v_mul_f16_e32 v65, 0xba62, v83
	v_add_f16_e32 v32, v32, v29
	v_add_f16_e32 v30, v34, v30
	v_fma_f16 v34, v38, 0xbacd, -v86
	v_pk_add_f16 v29, v10, v4 neg_lo:[0,1] neg_hi:[0,1]
	v_fmamk_f16 v40, v28, 0xb8d2, v65
	v_pk_mul_f16 v39, 0xb461bacd, v27
	v_add_f16_e32 v52, v42, v31
	v_add_f16_e32 v32, v34, v32
	v_lshrrev_b32_e32 v87, 16, v29
	v_add_f16_e32 v34, v40, v30
	v_pk_mul_f16 v40, 0xb8d2b461, v28
	v_pk_add_f16 v30, v4, v10
	v_lshrrev_b32_e32 v53, 16, v50
	v_mul_f16_e32 v68, 0xb836, v87
	v_pk_fma_f16 v63, 0x3836bbb2, v25, v39 op_sel:[0,0,1] op_sel_hi:[1,1,0] neg_lo:[0,1,0] neg_hi:[0,1,0]
	v_pk_fma_f16 v66, 0x3bb2ba62, v26, v40 op_sel:[0,0,1] op_sel_hi:[1,1,0] neg_lo:[0,1,0] neg_hi:[0,1,0]
	v_pk_fma_f16 v67, 0x3bb2ba62, v26, v40 op_sel:[0,0,1] op_sel_hi:[1,1,0]
	v_lshrrev_b32_e32 v40, 16, v43
	v_fmamk_f16 v49, v30, 0xbacd, v68
	v_pk_fma_f16 v64, 0x3836bbb2, v25, v39 op_sel:[0,0,1] op_sel_hi:[1,1,0]
	v_lshrrev_b32_e32 v39, 16, v28
	v_mul_f16_e32 v88, 0x3bb2, v26
	v_add_f16_e32 v40, v40, v11
	v_add_f16_e32 v49, v49, v34
	;; [unrolled: 1-line block ×3, first 2 shown]
	v_pk_mul_f16 v51, 0xbacd3722, v30
	v_fma_f16 v41, v39, 0xb461, -v88
	v_add_f16_e32 v52, v53, v40
	v_lshrrev_b32_e32 v53, 16, v56
	v_lshrrev_b32_e32 v40, 16, v30
	v_mul_f16_e32 v90, 0x3b29, v29
	v_add_f16_e32 v34, v55, v34
	v_add_f16_e32 v41, v41, v32
	;; [unrolled: 1-line block ×3, first 2 shown]
	v_lshrrev_b32_e32 v53, 16, v58
	v_pk_fma_f16 v72, 0x3b29b836, v29, v51 op_sel:[0,0,1] op_sel_hi:[1,1,0] neg_lo:[0,1,0] neg_hi:[0,1,0]
	v_pk_add_f16 v32, v6, v7 neg_lo:[0,1] neg_hi:[0,1]
	v_pk_fma_f16 v77, 0x3b29b836, v29, v51 op_sel:[0,0,1] op_sel_hi:[1,1,0]
	v_fma_f16 v51, v40, 0x3722, -v90
	v_add_f16_e32 v54, v57, v34
	v_add_f16_e32 v52, v53, v52
	v_lshrrev_b32_e32 v53, 16, v64
	v_pk_add_f16 v34, v7, v6
	v_lshrrev_b32_e32 v89, 16, v32
	v_add_f16_e32 v70, v51, v41
	v_add_f16_e32 v41, v63, v54
	;; [unrolled: 1-line block ×3, first 2 shown]
	v_lshrrev_b32_e32 v52, 16, v67
	v_pk_mul_f16 v54, 0xbbdd3b76, v34
	v_mul_f16_e32 v84, 0xb1e1, v89
	v_add_f16_e32 v93, v66, v41
	v_lshrrev_b32_e32 v41, 16, v34
	v_add_f16_e32 v51, v52, v51
	v_lshrrev_b32_e32 v52, 16, v77
	v_pk_fma_f16 v81, 0x35c8b1e1, v32, v54 op_sel:[0,0,1] op_sel_hi:[1,1,0]
	v_mul_f16_e32 v91, 0x35c8, v32
	v_fmamk_f16 v53, v34, 0xbbdd, v84
	v_pk_fma_f16 v82, 0x35c8b1e1, v32, v54 op_sel:[0,0,1] op_sel_hi:[1,1,0] neg_lo:[0,1,0] neg_hi:[0,1,0]
	v_add_f16_e32 v54, v72, v93
	v_add_f16_e32 v93, v52, v51
	v_lshrrev_b32_e32 v94, 16, v81
	v_fma_f16 v95, v41, 0x3b76, -v91
	v_add_f16_e32 v51, v53, v49
	v_add_f16_e32 v52, v82, v54
	v_mul_lo_u16 v49, v47, 17
	v_add_f16_e32 v54, v94, v93
	v_add_f16_e32 v53, v95, v70
	global_wb scope:SCOPE_SE
	s_barrier_signal -1
	s_barrier_wait -1
	global_inv scope:SCOPE_SE
	s_and_saveexec_b32 s0, vcc_lo
	s_cbranch_execz .LBB0_7
; %bb.6:
	v_mul_f16_e32 v100, 0xb836, v15
	v_alignbit_b32 v70, v11, v11, 16
	v_mul_f16_e32 v101, 0x3b29, v22
	v_alignbit_b32 v92, v92, v92, 16
	v_mul_f16_e32 v102, 0xbbf7, v19
	v_fmamk_f16 v93, v35, 0xbacd, v100
	v_pk_add_f16 v12, v12, v70 op_sel:[0,1] op_sel_hi:[1,0]
	v_fmamk_f16 v94, v18, 0x3722, v101
	v_mul_f16_e32 v99, 0xb836, v71
	v_mul_f16_e32 v103, 0x3a62, v23
	v_add_f16_e32 v93, v93, v31
	v_fmamk_f16 v95, v37, 0x2de8, v102
	v_pk_add_f16 v12, v92, v12
	v_mul_f16_e32 v96, 0x3b29, v74
	v_mul_f16_e32 v104, 0xb5c8, v25
	v_add_f16_e32 v92, v94, v93
	v_fma_f16 v93, v21, 0xbacd, -v99
	v_fmamk_f16 v94, v36, 0xb8d2, v103
	v_pk_add_f16 v12, v16, v12
	v_mul_f16_e32 v97, 0xbbf7, v75
	v_add_f16_e32 v16, v95, v92
	v_fma_f16 v92, v33, 0x3722, -v96
	v_fmamk_f16 v95, v38, 0x3b76, v104
	v_add_f16_e32 v93, v93, v11
	v_pk_add_f16 v12, v13, v12
	v_add_f16_e32 v13, v94, v16
	v_mul_f16_e32 v105, 0xb1e1, v26
	v_fma_f16 v94, v20, 0x2de8, -v97
	v_add_f16_e32 v92, v92, v93
	v_pk_add_f16 v16, v14, v12
	v_add_f16_e32 v12, v95, v13
	v_fmamk_f16 v13, v39, 0xbbdd, v105
	v_mul_f16_e32 v98, 0x3a62, v78
	v_mul_f16_e32 v106, 0x3964, v29
	;; [unrolled: 1-line block ×3, first 2 shown]
	v_add_f16_e32 v14, v94, v92
	v_add_f16_e32 v12, v13, v12
	v_fma_f16 v13, v24, 0xb8d2, -v98
	v_mul_f16_e32 v108, 0xb5c8, v80
	v_fmamk_f16 v92, v40, 0x39e9, v106
	v_fmamk_f16 v93, v35, 0xb8d2, v107
	v_mul_f16_e32 v109, 0x3bb2, v22
	v_add_f16_e32 v13, v13, v14
	v_fma_f16 v14, v27, 0x3b76, -v108
	v_add_f16_e32 v12, v92, v12
	v_add_f16_e32 v92, v93, v31
	v_fmamk_f16 v93, v18, 0xb461, v109
	v_mul_f16_e32 v110, 0xb5c8, v19
	v_add_f16_e32 v13, v14, v13
	v_mul_f16_e32 v112, 0xb1e1, v83
	v_mul_f16_e32 v113, 0xb836, v23
	v_add_f16_e32 v14, v93, v92
	v_fmamk_f16 v92, v37, 0x3b76, v110
	v_mul_f16_e32 v111, 0xbbb2, v32
	v_fma_f16 v94, v28, 0xbbdd, -v112
	v_mul_f16_e32 v114, 0x3964, v87
	v_mul_f16_e32 v115, 0x3bf7, v25
	v_add_f16_e32 v14, v92, v14
	v_fmamk_f16 v92, v36, 0xbacd, v113
	v_fmamk_f16 v93, v41, 0xb461, v111
	v_add_f16_e32 v13, v94, v13
	v_fma_f16 v94, v30, 0x39e9, -v114
	v_mul_f16_e32 v116, 0xb964, v26
	v_add_f16_e32 v14, v92, v14
	v_fmamk_f16 v92, v38, 0x2de8, v115
	v_mul_f16_e32 v117, 0xbbb2, v89
	v_mul_f16_e32 v118, 0xba62, v71
	v_add_f16_e32 v12, v93, v12
	v_add_f16_e32 v13, v94, v13
	;; [unrolled: 1-line block ×3, first 2 shown]
	v_fmamk_f16 v92, v39, 0x39e9, v116
	v_mul_f16_e32 v119, 0xb1e1, v29
	v_fma_f16 v93, v34, 0xb461, -v117
	v_fma_f16 v94, v21, 0xb8d2, -v118
	v_mul_f16_e32 v120, 0x3bb2, v74
	v_add_f16_e32 v14, v92, v14
	v_fmamk_f16 v92, v40, 0xbbdd, v119
	v_add_f16_e32 v13, v93, v13
	v_add_f16_e32 v93, v94, v11
	v_fma_f16 v94, v33, 0xb461, -v120
	v_mul_f16_e32 v121, 0xb5c8, v75
	v_mul_f16_e32 v123, 0xbbb2, v15
	v_add_f16_e32 v14, v92, v14
	v_mul_f16_e32 v124, 0xb836, v78
	v_add_f16_e32 v92, v94, v93
	v_fma_f16 v93, v20, 0x3b76, -v121
	v_fmamk_f16 v95, v35, 0xb461, v123
	v_mul_f16_e32 v125, 0x3836, v22
	v_mul_f16_e32 v126, 0x3bf7, v80
	v_mul_f16_e64 v128, 0x3964, v19
	v_add_f16_e32 v92, v93, v92
	v_fma_f16 v93, v24, 0xbacd, -v124
	v_add_f16_e32 v95, v95, v31
	v_fmamk_f16 v127, v18, 0xbacd, v125
	v_mul_f16_e32 v122, 0x3b29, v32
	v_mul_f16_e64 v129, 0xb964, v83
	v_add_f16_e32 v92, v93, v92
	v_fma_f16 v93, v27, 0x2de8, -v126
	v_add_f16_e32 v95, v127, v95
	v_fma_f16 v127, 0x39e9, v37, v128
	v_mul_f16_e64 v130, 0xbb29, v23
	v_fmamk_f16 v94, v41, 0x3722, v122
	v_add_f16_e32 v92, v93, v92
	v_fma_f16 v93, v28, 0x39e9, -v129
	v_mul_f16_e64 v131, 0xb1e1, v87
	v_add_f16_e32 v95, v127, v95
	v_fma_f16 v127, 0x3722, v36, v130
	v_mul_f16_e64 v132, 0xb1e1, v25
	v_add_f16_e32 v92, v93, v92
	v_fma_f16 v93, v30, 0xbbdd, -v131
	v_add_f16_e32 v14, v94, v14
	v_add_f16_e32 v94, v127, v95
	v_fma_f16 v95, 0xbbdd, v38, v132
	v_mul_f16_e32 v127, 0x3bf7, v26
	v_mul_f16_e64 v133, 0x3b29, v89
	v_mul_f16_e64 v134, 0xbbb2, v71
	v_add_f16_e32 v92, v93, v92
	v_add_f16_e32 v93, v95, v94
	v_fmamk_f16 v94, v39, 0x2de8, v127
	v_mul_f16_e64 v135, 0xb5c8, v29
	v_fma_f16 v95, v34, 0x3722, -v133
	v_fma_f16 v136, v21, 0xb461, -v134
	v_mul_f16_e64 v137, 0x3836, v74
	v_add_f16_e32 v93, v94, v93
	v_fma_f16 v94, 0x3b76, v40, v135
	v_add_f16_e32 v92, v95, v92
	v_add_f16_e64 v95, v136, v11
	v_fma_f16 v136, v33, 0xbacd, -v137
	v_mul_f16_e64 v138, 0x3964, v75
	v_mul_f16_e64 v140, 0xbbf7, v15
	v_add_f16_e32 v93, v94, v93
	v_mul_f16_e64 v143, 0xb1e1, v22
	v_add_f16_e64 v94, v136, v95
	v_fma_f16 v95, v20, 0x39e9, -v138
	v_mul_f16_e64 v136, 0xbb29, v78
	v_fma_f16 v142, 0x2de8, v35, v140
	v_mul_f16_e64 v144, 0xb1e1, v80
	v_fma_f16 v145, 0xbbdd, v18, v143
	v_add_f16_e32 v94, v95, v94
	v_fma_f16 v95, v24, 0x3722, -v136
	v_add_f16_e64 v142, v142, v31
	v_mul_f16_e64 v146, 0x3bb2, v19
	v_mul_f16_e64 v139, 0xba62, v32
	;; [unrolled: 1-line block ×3, first 2 shown]
	v_add_f16_e32 v94, v95, v94
	v_fma_f16 v95, v27, 0xbbdd, -v144
	v_add_f16_e64 v142, v145, v142
	v_fma_f16 v145, 0xb461, v37, v146
	v_mul_f16_e64 v148, 0x35c8, v23
	v_fma_f16 v141, 0xb8d2, v41, v139
	v_add_f16_e32 v94, v95, v94
	v_fma_f16 v95, v28, 0x2de8, -v147
	v_mul_f16_e64 v149, 0xb5c8, v87
	v_add_f16_e64 v142, v145, v142
	v_fma_f16 v145, 0x3b76, v36, v148
	v_mul_f16_e64 v150, 0xbb29, v25
	v_add_f16_e32 v94, v95, v94
	v_fma_f16 v95, v30, 0x3b76, -v149
	v_add_f16_e64 v93, v141, v93
	v_add_f16_e64 v141, v145, v142
	v_fma_f16 v142, 0x3722, v38, v150
	v_mul_f16_e64 v145, 0xb836, v26
	v_mul_f16_e64 v151, 0xbbf7, v71
	v_add_f16_e32 v94, v95, v94
	v_mul_f16_e64 v152, 0xba62, v89
	v_add_f16_e64 v95, v142, v141
	v_fma_f16 v141, 0xbacd, v39, v145
	v_mul_f16_e64 v142, 0x3a62, v29
	v_fma_f16 v153, v21, 0x2de8, -v151
	v_mul_f16_e64 v154, 0xb1e1, v74
	v_fma_f16 v155, v34, 0xb8d2, -v152
	v_add_f16_e64 v95, v141, v95
	v_fma_f16 v141, 0xb8d2, v40, v142
	v_add_f16_e64 v153, v153, v11
	v_fma_f16 v156, v33, 0xbbdd, -v154
	v_mul_f16_e64 v157, 0x3bb2, v75
	v_add_f16_e64 v94, v155, v94
	v_add_f16_e64 v95, v141, v95
	v_mul_f16_e64 v141, 0xbb29, v15
	v_add_f16_e64 v153, v156, v153
	v_fma_f16 v155, v20, 0xb461, -v157
	v_mul_f16_e64 v156, 0x35c8, v78
	v_mul_f16_e64 v160, 0xba62, v22
	v_fma_f16 v159, 0x3722, v35, v141
	v_mul_f16_e64 v161, 0xbb29, v80
	v_add_f16_e64 v153, v155, v153
	v_fma_f16 v155, v24, 0x3b76, -v156
	v_fma_f16 v162, 0xb8d2, v18, v160
	v_add_f16_e64 v159, v159, v31
	v_mul_f16_e64 v163, 0x31e1, v19
	v_mul_f16_e64 v164, 0xb836, v83
	v_add_f16_e64 v153, v155, v153
	v_fma_f16 v155, v27, 0x3722, -v161
	v_add_f16_e64 v159, v162, v159
	v_fma_f16 v162, 0xbbdd, v37, v163
	v_mul_f16_e64 v165, 0x3bb2, v23
	v_mul_f16_e64 v166, 0x3a62, v87
	v_add_f16_e64 v153, v155, v153
	v_fma_f16 v155, v28, 0xbacd, -v164
	v_mul_f16_e64 v158, 0x3964, v32
	v_add_f16_e64 v159, v162, v159
	v_fma_f16 v162, 0xb461, v36, v165
	v_mul_f16_e64 v167, 0x3964, v25
	v_add_f16_e64 v153, v155, v153
	v_fma_f16 v155, v30, 0xb8d2, -v166
	v_mul_f16_e64 v168, 0x3964, v89
	v_add_f16_e64 v159, v162, v159
	v_fma_f16 v162, 0x39e9, v38, v167
	v_mul_f16_e64 v169, 0xb5c8, v26
	v_fma_f16 v170, 0x39e9, v41, v158
	v_add_f16_e64 v153, v155, v153
	v_fma_f16 v155, v34, 0x39e9, -v168
	v_add_f16_e64 v159, v162, v159
	v_fma_f16 v162, 0x3b76, v39, v169
	v_add_f16_e64 v95, v170, v95
	v_mul_f16_e64 v170, 0xbbf7, v29
	v_mul_f16_e64 v171, 0xbb29, v71
	v_add_f16_e64 v71, v155, v153
	v_mul_f16_e64 v155, 0x39e9, v35
	v_add_f16_e64 v153, v162, v159
	v_fma_f16 v159, 0x2de8, v40, v170
	v_fma_f16 v162, v21, 0x3722, -v171
	v_mul_f16_e32 v74, 0xba62, v74
	v_mul_f16_e64 v172, 0x2de8, v18
	v_add_f16_e64 v73, v73, v155
	v_add_f16_e64 v153, v159, v153
	;; [unrolled: 1-line block ×3, first 2 shown]
	v_fma_f16 v159, v33, 0xb8d2, -v74
	v_add_f16_e64 v76, v76, v172
	v_add_f16_e32 v73, v73, v31
	v_mul_f16_e64 v162, 0xb8d2, v37
	v_mul_f16_e64 v172, 0xb836, v32
	v_add_f16_e64 v155, v159, v155
	v_mul_f16_e64 v159, 0xbbdd, v36
	v_add_f16_e32 v73, v76, v73
	v_add_f16_e64 v79, v79, v162
	v_fma_f16 v162, 0xbacd, v41, v172
	v_bfi_b32 v42, 0xffff, v43, v42
	v_add_f16_e64 v85, v85, v159
	v_bfi_b32 v43, 0xffff, v50, v44
	v_add_f16_e32 v79, v79, v73
	v_add_f16_e64 v73, v162, v153
	v_mul_f16_e64 v153, 0xbacd, v38
	v_bfi_b32 v44, 0xffff, v56, v55
	v_mul_f16_e32 v50, 0xbbdd, v34
	v_add_f16_e32 v79, v85, v79
	v_mul_f16_e32 v85, 0x3b76, v21
	v_add_f16_e64 v86, v86, v153
	v_mul_f16_e64 v153, 0x39e9, v33
	v_fma_f16 v56, v36, 0xb8d2, -v103
	v_bfi_b32 v57, 0xffff, v58, v57
	v_sub_f16_e32 v59, v85, v59
	v_add_f16_e32 v79, v86, v79
	v_sub_f16_e64 v60, v153, v60
	v_mul_f16_e32 v86, 0x3722, v20
	v_mul_f16_e32 v85, 0xb461, v39
	v_add_f16_e32 v59, v59, v11
	v_sub_f16_e32 v50, v50, v84
	v_fmac_f16_e32 v99, 0xbacd, v21
	v_sub_f16_e32 v61, v86, v61
	v_mul_f16_e32 v86, 0x2de8, v24
	v_add_f16_e32 v59, v60, v59
	v_add_f16_e32 v85, v88, v85
	v_mul_f16_e32 v60, 0xbbf7, v87
	v_mul_f16_e32 v87, 0x3722, v40
	v_fmac_f16_e32 v96, 0x3722, v33
	v_add_f16_e32 v59, v61, v59
	v_sub_f16_e32 v61, v86, v62
	v_mul_f16_e32 v62, 0xb461, v27
	v_add_f16_e32 v79, v85, v79
	v_add_f16_e32 v87, v90, v87
	v_fma_f16 v86, v35, 0xbacd, -v100
	v_add_f16_e32 v59, v61, v59
	v_sub_f16_e32 v61, v62, v69
	v_mul_f16_e32 v69, 0xb8d2, v28
	v_add_f16_e32 v79, v87, v79
	v_add_f16_e32 v86, v86, v31
	v_fma_f16 v87, v18, 0x3722, -v101
	v_add_f16_e32 v59, v61, v59
	v_sub_f16_e32 v65, v69, v65
	v_mul_f16_e32 v69, 0xbacd, v30
	v_fmac_f16_e32 v97, 0x2de8, v20
	v_fmac_f16_e32 v98, 0xb8d2, v24
	;; [unrolled: 1-line block ×3, first 2 shown]
	v_add_f16_e32 v59, v65, v59
	v_sub_f16_e32 v65, v69, v68
	v_add_f16_e32 v68, v87, v86
	v_fma_f16 v69, v37, 0x2de8, -v102
	v_fmac_f16_e32 v120, 0xb461, v33
	v_fmac_f16_e32 v121, 0x3b76, v20
	v_add_f16_e32 v58, v65, v59
	v_bfi_b32 v59, 0xffff, v64, v63
	v_add_f16_e32 v55, v69, v68
	v_bfi_b32 v63, 0xffff, v67, v66
	v_add_f16_e32 v66, v99, v11
	v_add_f16_e32 v50, v50, v58
	v_fma_f16 v58, v35, 0xb8d2, -v107
	v_add_f16_e32 v55, v56, v55
	v_fma_f16 v56, v38, 0x3b76, -v104
	;; [unrolled: 2-line block ×3, first 2 shown]
	v_add_f16_e32 v58, v58, v31
	v_mul_f16_e32 v75, 0x31e1, v75
	v_add_f16_e32 v55, v56, v55
	v_fma_f16 v56, v39, 0xbbdd, -v105
	v_add_f16_e32 v66, v97, v66
	v_add_f16_e32 v58, v67, v58
	v_fma_f16 v67, v37, 0x3b76, -v110
	v_fmac_f16_e32 v124, 0xbacd, v24
	v_add_f16_e32 v55, v56, v55
	v_fma_f16 v56, v40, 0x39e9, -v106
	v_fma_f16 v76, v20, 0xbbdd, -v75
	v_add_f16_e32 v58, v67, v58
	v_add_f16_e32 v67, v118, v11
	v_mul_f16_e32 v78, 0x3bb2, v78
	v_add_f16_e32 v55, v56, v55
	v_fma_f16 v56, v41, 0xb461, -v111
	v_fmac_f16_e32 v126, 0x2de8, v27
	v_add_f16_e32 v67, v120, v67
	v_fma_f16 v68, v35, 0xb461, -v123
	v_add_f16_e64 v76, v76, v155
	v_add_f16_e32 v55, v56, v55
	v_add_f16_e32 v56, v98, v66
	v_fma_f16 v66, v36, 0xbacd, -v113
	v_add_f16_e32 v67, v121, v67
	v_fma_f16 v155, v24, 0xb461, -v78
	v_mul_f16_e32 v80, 0x3964, v80
	v_fmac_f16_e64 v129, 0x39e9, v28
	v_add_f16_e32 v58, v66, v58
	v_fma_f16 v66, v38, 0x2de8, -v115
	v_add_f16_e32 v67, v124, v67
	v_add_f16_e32 v68, v68, v31
	v_fma_f16 v69, v18, 0xbacd, -v125
	v_add_f16_e64 v76, v155, v76
	v_add_f16_e32 v58, v66, v58
	v_fma_f16 v66, v39, 0x39e9, -v116
	v_add_f16_e32 v67, v126, v67
	v_fma_f16 v155, v27, 0x39e9, -v80
	v_mul_f16_e32 v83, 0xb5c8, v83
	v_bfi_b32 v64, 0xffff, v77, v72
	v_add_f16_e32 v58, v66, v58
	v_fma_f16 v66, v40, 0xbbdd, -v119
	v_add_f16_e64 v76, v155, v76
	v_fma_f16 v155, v28, 0x3b76, -v83
	v_fma_f16 v72, v35, 0x2de8, -v140
	;; [unrolled: 1-line block ×3, first 2 shown]
	v_add_f16_e32 v58, v66, v58
	v_fma_f16 v66, v41, 0x3722, -v122
	v_add_f16_e64 v76, v155, v76
	v_add_f16_e32 v72, v72, v31
	v_fma_f16 v77, v18, 0xbbdd, -v143
	v_mul_f16_e32 v62, 0xb836, v89
	v_add_f16_e32 v58, v66, v58
	v_add_f16_e64 v66, v129, v67
	v_add_f16_e32 v67, v69, v68
	v_fma_f16 v68, v37, 0x39e9, -v128
	v_add_f16_e32 v76, v85, v76
	v_mul_f16_e32 v85, 0x3b76, v41
	v_add_f16_e32 v72, v77, v72
	v_fma_f16 v77, v37, 0xb461, -v146
	v_add_f16_e32 v67, v68, v67
	v_fma_f16 v68, v36, 0x3722, -v130
	;; [unrolled: 2-line block ×5, first 2 shown]
	v_fmac_f16_e64 v151, 0x2de8, v21
	v_fma_f16 v35, v35, 0x3722, -v141
	v_pk_add_f16 v9, v9, v16
	v_add_f16_e32 v61, v61, v76
	v_add_f16_e32 v67, v68, v67
	v_fma_f16 v68, v39, 0x2de8, -v127
	v_add_f16_e32 v76, v85, v79
	v_add_f16_e32 v72, v77, v72
	v_fma_f16 v77, v38, 0x3722, -v150
	v_add_f16_e64 v79, v151, v11
	v_add_f16_e32 v67, v68, v67
	v_fma_f16 v68, v40, 0x3b76, -v135
	v_fmac_f16_e64 v154, 0xbbdd, v33
	v_add_f16_e32 v31, v35, v31
	v_fma_f16 v35, v18, 0xb8d2, -v160
	v_pk_add_f16 v9, v10, v9
	v_add_f16_e32 v67, v68, v67
	v_fma_f16 v68, v41, 0xb8d2, -v139
	v_fmac_f16_e64 v157, 0xb461, v20
	v_add_f16_e32 v31, v35, v31
	v_fma_f16 v37, v37, 0xbbdd, -v163
	v_pk_add_f16 v6, v6, v9
	v_add_f16_e32 v67, v68, v67
	v_add_f16_e32 v68, v77, v72
	v_fma_f16 v72, v39, 0xbacd, -v145
	v_add_f16_e64 v77, v154, v79
	v_fmac_f16_e64 v156, 0x3b76, v24
	v_add_f16_e32 v31, v37, v31
	v_fma_f16 v16, v36, 0xb461, -v165
	v_add_f16_e32 v68, v72, v68
	v_fma_f16 v72, v40, 0xb8d2, -v142
	v_add_f16_e64 v77, v157, v77
	v_pk_add_f16 v6, v7, v6
	v_fmac_f16_e64 v134, 0xb461, v21
	v_fmac_f16_e64 v161, 0x3722, v27
	v_add_f16_e32 v68, v72, v68
	v_add_f16_e64 v72, v156, v77
	v_fmac_f16_e64 v171, 0x3722, v21
	v_add_f16_e32 v10, v16, v31
	v_fma_f16 v16, v38, 0x39e9, -v167
	v_pk_add_f16 v4, v4, v6
	v_add_f16_e64 v69, v134, v11
	v_add_f16_e64 v72, v161, v72
	;; [unrolled: 1-line block ×3, first 2 shown]
	v_fmac_f16_e32 v74, 0xb8d2, v33
	v_fmac_f16_e64 v164, 0xbacd, v28
	v_add_f16_e32 v9, v16, v10
	v_fma_f16 v10, v39, 0x3b76, -v169
	v_pk_add_f16 v4, v5, v4
	v_fmac_f16_e64 v137, 0xbacd, v33
	v_add_f16_e32 v11, v74, v11
	v_fmac_f16_e32 v75, 0xbbdd, v20
	v_add_f16_e64 v33, v164, v72
	v_fmac_f16_e64 v166, 0xb8d2, v30
	v_add_f16_e32 v9, v10, v9
	v_fma_f16 v10, v40, 0x2de8, -v170
	v_pk_add_f16 v2, v2, v4
	v_add_f16_e32 v11, v75, v11
	v_fmac_f16_e32 v78, 0xb461, v24
	v_add_f16_e64 v7, v166, v33
	v_fmac_f16_e64 v168, 0x39e9, v34
	v_add_f16_e32 v9, v10, v9
	v_fma_f16 v5, v41, 0xbacd, -v172
	v_pk_add_f16 v2, v3, v2
	v_add_f16_e32 v11, v78, v11
	v_fmac_f16_e32 v80, 0x39e9, v27
	v_add_f16_e64 v4, v168, v7
	v_add_f16_e32 v5, v5, v9
	v_and_b32_e32 v3, 0xffff, v49
	v_pk_add_f16 v7, v42, v70
	v_pk_mul_f16 v9, 0xbbdd, v21 op_sel_hi:[0,1]
	v_pk_add_f16 v0, v0, v2
	v_add_f16_e32 v6, v80, v11
	v_add_lshl_u32 v2, v46, v3, 2
	v_pk_add_f16 v3, v43, v7
	v_pk_fma_f16 v7, 0xb1e1, v15, v9 op_sel:[0,0,1] op_sel_hi:[0,1,0] neg_lo:[0,1,0] neg_hi:[0,1,0]
	v_pk_mul_f16 v11, 0x35c8, v22 op_sel_hi:[0,1]
	v_pk_add_f16 v0, v1, v0
	v_pk_fma_f16 v1, 0xb1e1, v15, v9 op_sel:[0,0,1] op_sel_hi:[0,1,0]
	v_pk_mul_f16 v15, 0xbacd, v20 op_sel_hi:[0,1]
	v_pk_add_f16 v7, v7, v70
	v_pk_fma_f16 v9, 0x3b76, v18, v11 op_sel_hi:[0,1,1] neg_lo:[0,0,1] neg_hi:[0,0,1]
	v_pk_fma_f16 v11, 0x3b76, v18, v11 op_sel_hi:[0,1,1]
	v_pk_add_f16 v1, v1, v70
	v_pk_mul_f16 v16, 0x39e9, v24 op_sel_hi:[0,1]
	v_add_f16_e64 v69, v137, v69
	v_pk_add_f16 v7, v9, v7
	v_pk_fma_f16 v9, 0xb836, v19, v15 op_sel:[0,0,1] op_sel_hi:[0,1,0] neg_lo:[0,1,0] neg_hi:[0,1,0]
	v_pk_add_f16 v1, v11, v1
	v_pk_fma_f16 v11, 0xb836, v19, v15 op_sel:[0,0,1] op_sel_hi:[0,1,0]
	v_fmac_f16_e64 v138, 0x39e9, v20
	v_pk_add_f16 v3, v44, v3
	v_pk_add_f16 v7, v9, v7
	v_pk_fma_f16 v9, 0x3964, v23, v16 op_sel:[0,0,1] op_sel_hi:[0,1,0] neg_lo:[0,1,0] neg_hi:[0,1,0]
	v_pk_mul_f16 v15, 0xb8d2, v27 op_sel_hi:[0,1]
	v_pk_add_f16 v1, v11, v1
	v_pk_fma_f16 v11, 0x3964, v23, v16 op_sel:[0,0,1] op_sel_hi:[0,1,0]
	v_add_f16_e64 v69, v138, v69
	v_fmac_f16_e64 v136, 0x3722, v24
	v_pk_add_f16 v3, v57, v3
	v_pk_add_f16 v7, v9, v7
	v_pk_fma_f16 v9, 0xba62, v25, v15 op_sel:[0,0,1] op_sel_hi:[0,1,0] neg_lo:[0,1,0] neg_hi:[0,1,0]
	v_pk_mul_f16 v16, 0x3722, v28 op_sel_hi:[0,1]
	v_pk_add_f16 v1, v11, v1
	v_pk_fma_f16 v11, 0xba62, v25, v15 op_sel:[0,0,1] op_sel_hi:[0,1,0]
	v_fmac_f16_e32 v108, 0x3b76, v27
	v_add_f16_e64 v69, v136, v69
	v_fmac_f16_e64 v144, 0xbbdd, v27
	v_pk_add_f16 v3, v59, v3
	v_pk_add_f16 v7, v9, v7
	v_pk_fma_f16 v9, 0x3b29, v26, v16 op_sel:[0,0,1] op_sel_hi:[0,1,0] neg_lo:[0,1,0] neg_hi:[0,1,0]
	v_pk_mul_f16 v15, 0xb461, v30 op_sel_hi:[0,1]
	v_pk_add_f16 v1, v11, v1
	v_pk_fma_f16 v11, 0x3b29, v26, v16 op_sel:[0,0,1] op_sel_hi:[0,1,0]
	v_add_f16_e32 v56, v108, v56
	v_fmac_f16_e32 v112, 0xbbdd, v28
	v_add_f16_e64 v69, v144, v69
	v_fmac_f16_e64 v147, 0x2de8, v28
	v_fmac_f16_e32 v83, 0x3b76, v28
	v_pk_add_f16 v3, v63, v3
	v_pk_add_f16 v7, v9, v7
	v_pk_fma_f16 v9, 0xbbb2, v29, v15 op_sel:[0,0,1] op_sel_hi:[0,1,0] neg_lo:[0,1,0] neg_hi:[0,1,0]
	v_pk_mul_f16 v16, 0x2de8, v34 op_sel_hi:[0,1]
	v_pk_add_f16 v1, v11, v1
	v_pk_fma_f16 v11, 0xbbb2, v29, v15 op_sel:[0,0,1] op_sel_hi:[0,1,0]
	v_add_f16_e32 v56, v112, v56
	v_fmac_f16_e32 v114, 0x39e9, v30
	v_fmac_f16_e64 v131, 0xbbdd, v30
	v_bfi_b32 v65, 0xffff, v81, v82
	v_add_f16_e64 v69, v147, v69
	v_fmac_f16_e64 v149, 0x3b76, v30
	v_add_f16_e32 v6, v83, v6
	v_fmac_f16_e32 v60, 0x2de8, v30
	v_pk_add_f16 v3, v64, v3
	v_pk_add_f16 v7, v9, v7
	v_pk_fma_f16 v9, 0x3bf7, v32, v16 op_sel:[0,0,1] op_sel_hi:[0,1,0] neg_lo:[0,1,0] neg_hi:[0,1,0]
	v_pk_add_f16 v1, v11, v1
	v_pk_fma_f16 v11, 0x3bf7, v32, v16 op_sel:[0,0,1] op_sel_hi:[0,1,0]
	v_add_f16_e32 v56, v114, v56
	v_fmac_f16_e32 v117, 0xb461, v34
	v_add_f16_e64 v66, v131, v66
	v_fmac_f16_e64 v133, 0x3722, v34
	v_add_f16_e64 v69, v149, v69
	v_fmac_f16_e64 v152, 0xb8d2, v34
	v_fma_f16 v35, v41, 0x39e9, -v158
	v_add_f16_e32 v6, v60, v6
	v_fmac_f16_e32 v62, 0xbacd, v34
	v_pk_add_f16 v3, v65, v3
	v_pk_add_f16 v0, v17, v0
	v_pack_b32_f16 v12, v13, v12
	v_pk_add_f16 v7, v9, v7
	v_pk_add_f16 v1, v11, v1
	v_add_f16_e32 v56, v117, v56
	v_add_f16_e64 v66, v133, v66
	v_add_f16_e64 v69, v152, v69
	v_add_f16_e32 v10, v35, v68
	v_add_f16_e32 v6, v62, v6
	v_alignbit_b32 v15, v76, v3, 16
	v_pack_b32_f16 v3, v50, v3
	v_pack_b32_f16 v16, v71, v95
	;; [unrolled: 1-line block ×5, first 2 shown]
	ds_store_2addr_b32 v2, v0, v12 offset1:7
	v_alignbit_b32 v0, v7, v1, 16
	v_alignbit_b32 v1, v1, v7, 16
	v_pack_b32_f16 v7, v66, v58
	v_pack_b32_f16 v12, v56, v55
	;; [unrolled: 1-line block ×5, first 2 shown]
	v_perm_b32 v6, v53, v54, 0x5040100
	v_perm_b32 v14, v52, v51, 0x5040100
	ds_store_2addr_b32 v2, v3, v15 offset0:1 offset1:2
	ds_store_2addr_b32 v2, v9, v16 offset0:3 offset1:4
	;; [unrolled: 1-line block ×7, first 2 shown]
	ds_store_b32 v2, v14 offset:64
.LBB0_7:
	s_wait_alu 0xfffe
	s_or_b32 exec_lo, exec_lo, s0
	v_add_co_u32 v21, null, v47, 51
	v_and_b32_e32 v0, 0xff, v47
	v_add_co_u32 v22, null, 0x66, v47
	v_add_co_u32 v19, null, 0x99, v47
	s_delay_alu instid0(VALU_DEP_3) | instskip(SKIP_3) | instid1(VALU_DEP_4)
	v_mul_lo_u16 v0, 0xf1, v0
	v_and_b32_e32 v1, 0xff, v21
	v_add_co_u32 v20, null, 0xcc, v47
	v_and_b32_e32 v6, 0xff, v22
	v_lshrrev_b16 v24, 12, v0
	v_and_b32_e32 v0, 0xff, v19
	v_mul_lo_u16 v1, 0xf1, v1
	v_and_b32_e32 v2, 0xff, v20
	v_mul_lo_u16 v3, 0xf1, v6
	v_mul_lo_u16 v4, v24, 17
	;; [unrolled: 1-line block ×3, first 2 shown]
	v_lshrrev_b16 v34, 12, v1
	v_mul_lo_u16 v1, 0xf1, v2
	v_lshrrev_b16 v35, 12, v3
	v_sub_nc_u16 v36, v47, v4
	v_lshrrev_b16 v37, 12, v0
	v_mul_lo_u16 v0, v34, 17
	v_lshrrev_b16 v38, 12, v1
	v_mul_lo_u16 v1, v35, 17
	v_lshlrev_b16 v2, 1, v36
	v_mul_lo_u16 v3, v37, 17
	v_sub_nc_u16 v0, v21, v0
	v_mul_lo_u16 v4, v38, 17
	v_sub_nc_u16 v1, v22, v1
	v_and_b32_e32 v2, 0xfe, v2
	v_sub_nc_u16 v3, v19, v3
	v_and_b32_e32 v39, 0xff, v0
	;; [unrolled: 2-line block ×3, first 2 shown]
	v_lshlrev_b32_e32 v1, 2, v2
	v_and_b32_e32 v41, 0xff, v3
	v_lshlrev_b32_e32 v2, 3, v39
	v_and_b32_e32 v42, 0xff, v0
	v_lshlrev_b32_e32 v0, 3, v40
	s_load_b128 s[4:7], s[4:5], 0x0
	global_wb scope:SCOPE_SE
	s_wait_dscnt 0x0
	s_wait_kmcnt 0x0
	s_barrier_signal -1
	s_barrier_wait -1
	global_inv scope:SCOPE_SE
	s_clause 0x1
	global_load_b64 v[17:18], v1, s[2:3]
	global_load_b64 v[15:16], v2, s[2:3]
	v_lshlrev_b32_e32 v1, 3, v41
	v_lshlrev_b32_e32 v2, 3, v42
	s_clause 0x2
	global_load_b64 v[13:14], v0, s[2:3]
	global_load_b64 v[11:12], v1, s[2:3]
	;; [unrolled: 1-line block ×3, first 2 shown]
	v_add_lshl_u32 v50, v46, v47, 2
	ds_load_2addr_b32 v[0:1], v50 offset1:51
	ds_load_2addr_b32 v[2:3], v50 offset0:204 offset1:255
	ds_load_2addr_b32 v[4:5], v50 offset0:102 offset1:153
	v_add_nc_u32_e32 v32, 0x600, v50
	v_add_nc_u32_e32 v31, 0x400, v50
	;; [unrolled: 1-line block ×3, first 2 shown]
	ds_load_b32 v43, v50 offset:2856
	v_mul_lo_u16 v44, 0xa1, v6
	ds_load_2addr_b32 v[6:7], v32 offset0:126 offset1:177
	ds_load_2addr_b32 v[25:26], v31 offset0:50 offset1:101
	;; [unrolled: 1-line block ×4, first 2 shown]
	v_and_b32_e32 v34, 0xffff, v34
	v_and_b32_e32 v35, 0xffff, v35
	;; [unrolled: 1-line block ×3, first 2 shown]
	v_lshrrev_b16 v44, 13, v44
	v_and_b32_e32 v38, 0xffff, v38
	v_mad_u16 v24, v24, 51, v36
	v_mul_u32_u24_e32 v34, 51, v34
	v_mul_u32_u24_e32 v35, 51, v35
	v_mul_lo_u16 v44, v44, 51
	v_mul_u32_u24_e32 v36, 51, v37
	v_mul_u32_u24_e32 v37, 51, v38
	v_and_b32_e32 v56, 0xff, v24
	s_wait_dscnt 0x6
	v_lshrrev_b32_e32 v60, 16, v3
	v_sub_nc_u16 v38, v22, v44
	v_add_nc_u32_e32 v34, v34, v39
	v_add_nc_u32_e32 v35, v35, v40
	s_wait_dscnt 0x3
	v_lshrrev_b32_e32 v44, 16, v6
	v_add_nc_u32_e32 v36, v36, v41
	v_add_nc_u32_e32 v37, v37, v42
	s_wait_dscnt 0x2
	v_lshrrev_b32_e32 v77, 16, v25
	v_lshrrev_b32_e32 v78, 16, v7
	v_lshrrev_b32_e32 v76, 16, v43
	v_lshrrev_b32_e32 v79, 16, v26
	s_wait_dscnt 0x1
	v_lshrrev_b32_e32 v80, 16, v27
	s_wait_dscnt 0x0
	v_lshrrev_b32_e32 v81, 16, v29
	v_lshrrev_b32_e32 v82, 16, v28
	;; [unrolled: 1-line block ×3, first 2 shown]
	v_add_lshl_u32 v59, v46, v56, 2
	v_add_lshl_u32 v61, v46, v34, 2
	;; [unrolled: 1-line block ×5, first 2 shown]
	v_lshrrev_b32_e32 v55, 16, v0
	v_lshrrev_b32_e32 v62, 16, v1
	;; [unrolled: 1-line block ×5, first 2 shown]
	v_and_b32_e32 v24, 0xff, v38
	v_lshlrev_b32_e32 v23, 4, v47
	global_wb scope:SCOPE_SE
	s_wait_loadcnt 0x0
	s_barrier_signal -1
	s_barrier_wait -1
	v_lshlrev_b32_e32 v38, 4, v24
	global_inv scope:SCOPE_SE
	v_lshlrev_b32_e32 v19, 3, v19
	v_lshlrev_b32_e32 v20, 3, v20
	v_lshrrev_b32_e32 v72, 16, v17
	v_lshrrev_b32_e32 v71, 16, v18
	;; [unrolled: 1-line block ×10, first 2 shown]
	v_mul_f16_e32 v34, v60, v72
	v_mul_f16_e32 v35, v3, v72
	;; [unrolled: 1-line block ×20, first 2 shown]
	v_fma_f16 v3, v3, v17, -v34
	v_fmac_f16_e32 v35, v60, v17
	v_fma_f16 v6, v6, v18, -v36
	v_fmac_f16_e32 v37, v44, v18
	v_fma_f16 v25, v25, v15, -v39
	v_fmac_f16_e32 v40, v77, v15
	v_fma_f16 v7, v7, v16, -v41
	v_fmac_f16_e32 v42, v78, v16
	v_fma_f16 v26, v26, v13, -v84
	v_fmac_f16_e32 v85, v79, v13
	v_fma_f16 v27, v27, v14, -v86
	v_fmac_f16_e32 v87, v80, v14
	v_fma_f16 v29, v29, v11, -v88
	v_fmac_f16_e32 v89, v81, v11
	v_fma_f16 v28, v28, v12, -v90
	v_fmac_f16_e32 v91, v82, v12
	v_fma_f16 v30, v30, v9, -v92
	v_fmac_f16_e32 v93, v83, v9
	v_fma_f16 v34, v43, v10, -v94
	v_fmac_f16_e32 v95, v76, v10
	v_add_f16_e32 v39, v3, v6
	v_sub_f16_e32 v41, v35, v37
	v_add_f16_e32 v43, v55, v35
	v_add_f16_e32 v35, v35, v37
	;; [unrolled: 1-line block ×3, first 2 shown]
	v_sub_f16_e32 v76, v40, v42
	v_add_f16_e32 v77, v62, v40
	v_add_f16_e32 v40, v40, v42
	;; [unrolled: 1-line block ×7, first 2 shown]
	v_sub_f16_e32 v92, v93, v95
	v_add_f16_e32 v94, v75, v93
	v_add_f16_e32 v93, v93, v95
	;; [unrolled: 1-line block ×3, first 2 shown]
	v_sub_f16_e32 v3, v3, v6
	v_sub_f16_e32 v80, v85, v87
	v_add_f16_e32 v81, v73, v85
	v_sub_f16_e32 v85, v89, v91
	v_add_f16_e32 v86, v74, v89
	v_add_f16_e32 v89, v2, v30
	v_fma_f16 v0, -0.5, v39, v0
	v_fmac_f16_e32 v55, -0.5, v35
	v_add_f16_e32 v44, v1, v25
	v_sub_f16_e32 v25, v25, v7
	v_fmac_f16_e32 v1, -0.5, v60
	v_fmac_f16_e32 v62, -0.5, v40
	v_add_f16_e32 v78, v4, v26
	v_sub_f16_e32 v26, v26, v27
	v_add_f16_e32 v83, v5, v29
	v_sub_f16_e32 v29, v29, v28
	v_sub_f16_e32 v30, v30, v34
	v_fma_f16 v4, -0.5, v79, v4
	v_fmac_f16_e32 v73, -0.5, v82
	v_fmac_f16_e32 v5, -0.5, v84
	;; [unrolled: 1-line block ×5, first 2 shown]
	v_add_f16_e32 v6, v36, v6
	v_add_f16_e32 v36, v43, v37
	;; [unrolled: 1-line block ×5, first 2 shown]
	v_fmamk_f16 v42, v41, 0x3aee, v0
	v_fmac_f16_e32 v0, 0xbaee, v41
	v_fmamk_f16 v41, v3, 0xbaee, v55
	v_fmac_f16_e32 v55, 0x3aee, v3
	v_add_f16_e32 v7, v44, v7
	v_fmamk_f16 v3, v76, 0x3aee, v1
	v_fmamk_f16 v43, v25, 0xbaee, v62
	v_fmac_f16_e32 v1, 0xbaee, v76
	v_fmac_f16_e32 v62, 0x3aee, v25
	v_add_f16_e32 v27, v78, v27
	v_add_f16_e32 v37, v81, v87
	v_fmamk_f16 v25, v80, 0x3aee, v4
	v_fmac_f16_e32 v4, 0xbaee, v80
	v_fmamk_f16 v44, v26, 0xbaee, v73
	v_fmac_f16_e32 v73, 0x3aee, v26
	;; [unrolled: 2-line block ×6, first 2 shown]
	v_add_f16_e32 v28, v83, v28
	v_add_f16_e32 v39, v86, v91
	v_pack_b32_f16 v6, v6, v36
	v_pack_b32_f16 v30, v34, v40
	;; [unrolled: 1-line block ×15, first 2 shown]
	ds_store_2addr_b32 v59, v6, v34 offset1:17
	ds_store_b32 v59, v0 offset:136
	ds_store_2addr_b32 v61, v7, v3 offset1:17
	ds_store_b32 v61, v1 offset:136
	;; [unrolled: 2-line block ×5, first 2 shown]
	global_wb scope:SCOPE_SE
	s_wait_dscnt 0x0
	s_barrier_signal -1
	s_barrier_wait -1
	global_inv scope:SCOPE_SE
	s_clause 0x1
	global_load_b128 v[4:7], v23, s[2:3] offset:136
	global_load_b128 v[0:3], v38, s[2:3] offset:136
	ds_load_2addr_b32 v[25:26], v50 offset1:51
	ds_load_2addr_b32 v[27:28], v50 offset0:102 offset1:153
	ds_load_2addr_b32 v[29:30], v31 offset0:50 offset1:101
	;; [unrolled: 1-line block ×4, first 2 shown]
	v_add_co_u32 v39, s0, s2, v23
	v_lshlrev_b32_e32 v41, 3, v21
	v_lshlrev_b32_e32 v42, 3, v22
	ds_load_2addr_b32 v[21:22], v50 offset0:204 offset1:255
	v_add_lshl_u32 v60, v46, v24, 2
	ds_load_2addr_b32 v[23:24], v32 offset0:126 offset1:177
	ds_load_b32 v43, v50 offset:2856
	v_lshlrev_b32_e32 v38, 3, v47
	s_wait_alu 0xf1ff
	v_add_co_ci_u32_e64 v40, null, s3, 0, s0
	v_add_nc_u32_e32 v44, 0x800, v60
	global_wb scope:SCOPE_SE
	s_wait_loadcnt_dscnt 0x0
	v_sub_co_u32 v38, s0, v39, v38
	v_lshrrev_b32_e32 v55, 16, v25
	v_lshrrev_b32_e32 v62, 16, v28
	;; [unrolled: 1-line block ×15, first 2 shown]
	s_wait_alu 0xf1ff
	v_subrev_co_ci_u32_e64 v39, s0, 0, v40, s0
	v_add_nc_u32_e32 v40, 0x600, v60
	s_barrier_signal -1
	s_barrier_wait -1
	global_inv scope:SCOPE_SE
	v_lshrrev_b32_e32 v90, 16, v4
	v_lshrrev_b32_e32 v89, 16, v5
	;; [unrolled: 1-line block ×8, first 2 shown]
	v_mul_f16_e32 v94, v62, v90
	v_mul_f16_e32 v95, v28, v90
	v_mul_f16_e32 v96, v73, v89
	v_mul_f16_e32 v97, v29, v89
	v_mul_f16_e32 v98, v74, v88
	v_mul_f16_e32 v99, v35, v88
	v_mul_f16_e32 v100, v75, v87
	v_mul_f16_e32 v101, v36, v87
	v_mul_f16_e32 v102, v77, v90
	v_mul_f16_e32 v103, v21, v90
	v_mul_f16_e32 v104, v79, v89
	v_mul_f16_e32 v105, v30, v89
	v_mul_f16_e32 v106, v80, v88
	v_mul_f16_e32 v107, v23, v88
	v_mul_f16_e32 v108, v81, v87
	v_mul_f16_e32 v109, v37, v87
	v_mul_f16_e32 v110, v84, v86
	v_mul_f16_e32 v111, v22, v86
	v_mul_f16_e32 v112, v91, v85
	v_mul_f16_e32 v113, v34, v85
	v_mul_f16_e32 v114, v92, v83
	v_mul_f16_e32 v115, v24, v83
	v_mul_f16_e32 v116, v93, v78
	v_mul_f16_e32 v117, v43, v78
	v_fma_f16 v28, v28, v4, -v94
	v_fmac_f16_e32 v95, v62, v4
	v_fma_f16 v29, v29, v5, -v96
	v_fmac_f16_e32 v97, v73, v5
	;; [unrolled: 2-line block ×12, first 2 shown]
	v_add_f16_e32 v62, v25, v28
	v_add_f16_e32 v73, v29, v35
	v_sub_f16_e32 v77, v28, v29
	v_sub_f16_e32 v79, v36, v35
	v_add_f16_e32 v80, v28, v36
	v_add_f16_e32 v91, v55, v95
	;; [unrolled: 1-line block ×4, first 2 shown]
	v_sub_f16_e32 v74, v95, v101
	v_sub_f16_e32 v81, v29, v28
	;; [unrolled: 1-line block ×7, first 2 shown]
	v_add_f16_e32 v102, v26, v21
	v_add_f16_e32 v104, v30, v23
	;; [unrolled: 1-line block ×6, first 2 shown]
	v_sub_f16_e32 v28, v28, v36
	v_sub_f16_e32 v93, v29, v35
	v_add_f16_e32 v126, v27, v22
	v_add_f16_e32 v127, v34, v24
	v_add_f16_e64 v132, v22, v43
	v_add_f16_e64 v135, v82, v111
	;; [unrolled: 1-line block ×4, first 2 shown]
	v_add_f16_e32 v29, v62, v29
	v_fma_f16 v62, -0.5, v73, v25
	v_add_f16_e32 v73, v77, v79
	v_fma_f16 v25, -0.5, v80, v25
	;; [unrolled: 2-line block ×3, first 2 shown]
	v_sub_f16_e32 v75, v97, v99
	v_sub_f16_e32 v110, v21, v30
	;; [unrolled: 1-line block ×3, first 2 shown]
	v_fmac_f16_e32 v55, -0.5, v98
	v_sub_f16_e32 v106, v103, v109
	v_sub_f16_e32 v108, v105, v107
	v_sub_f16_e32 v116, v30, v21
	v_sub_f16_e32 v118, v23, v37
	v_sub_f16_e32 v21, v21, v37
	v_sub_f16_e32 v121, v30, v23
	v_add_f16_e32 v77, v81, v84
	v_add_f16_e32 v81, v94, v96
	;; [unrolled: 1-line block ×4, first 2 shown]
	v_fma_f16 v91, -0.5, v104, v26
	v_fmac_f16_e32 v26, -0.5, v114
	v_add_f16_e32 v95, v119, v105
	v_fma_f16 v96, -0.5, v120, v76
	v_fmac_f16_e32 v76, -0.5, v124
	v_sub_f16_e32 v122, v103, v105
	v_sub_f16_e32 v103, v105, v103
	v_sub_f16_e64 v128, v111, v117
	v_sub_f16_e64 v129, v113, v115
	;; [unrolled: 1-line block ×4, first 2 shown]
	v_sub_f16_e32 v22, v22, v43
	v_sub_f16_e64 v137, v34, v24
	v_add_f16_e32 v34, v126, v34
	v_fma_f16 v100, -0.5, v127, v27
	v_fmac_f16_e64 v27, -0.5, v132
	v_add_f16_e64 v104, v135, v113
	v_fma_f16 v105, -0.5, v136, v82
	v_fmac_f16_e64 v82, -0.5, v140
	v_add_f16_e32 v29, v29, v35
	v_fmamk_f16 v35, v74, 0x3b9c, v62
	v_add_f16_e32 v79, v79, v99
	v_fmamk_f16 v99, v28, 0xbb9c, v80
	v_sub_f16_e64 v138, v111, v113
	v_sub_f16_e32 v111, v113, v111
	v_add_f16_e32 v92, v110, v112
	v_fmamk_f16 v112, v75, 0xbb9c, v25
	v_fmac_f16_e32 v25, 0x3b9c, v75
	v_fmamk_f16 v113, v93, 0x3b9c, v55
	v_fmac_f16_e32 v55, 0xbb9c, v93
	v_fmac_f16_e32 v62, 0xbb9c, v74
	;; [unrolled: 1-line block ×3, first 2 shown]
	v_sub_f16_e32 v123, v109, v107
	v_sub_f16_e32 v125, v107, v109
	v_add_f16_e32 v94, v116, v118
	v_add_f16_e32 v23, v30, v23
	v_fmamk_f16 v30, v106, 0x3b9c, v91
	v_fmamk_f16 v114, v108, 0xbb9c, v26
	v_add_f16_e32 v95, v95, v107
	v_fmamk_f16 v107, v21, 0xbb9c, v96
	v_fmamk_f16 v116, v121, 0x3b9c, v76
	v_fmac_f16_e32 v91, 0xbb9c, v106
	v_fmac_f16_e32 v26, 0x3b9c, v108
	;; [unrolled: 1-line block ×4, first 2 shown]
	v_sub_f16_e64 v131, v43, v24
	v_sub_f16_e64 v134, v24, v43
	;; [unrolled: 1-line block ×4, first 2 shown]
	v_add_f16_e32 v24, v34, v24
	v_fma_f16 v34, 0x3b9c, v128, v100
	v_fmac_f16_e64 v100, 0xbb9c, v128
	v_fma_f16 v118, 0xbb9c, v129, v27
	v_fmac_f16_e64 v27, 0x3b9c, v129
	v_add_f16_e32 v104, v104, v115
	v_fmamk_f16 v115, v22, 0xbb9c, v105
	v_fmac_f16_e32 v105, 0x3b9c, v22
	v_fma_f16 v119, 0x3b9c, v137, v82
	v_fmac_f16_e64 v82, 0xbb9c, v137
	v_fmac_f16_e32 v35, 0x38b4, v75
	v_fmac_f16_e32 v99, 0xb8b4, v93
	;; [unrolled: 1-line block ×8, first 2 shown]
	v_add_f16_e32 v97, v122, v123
	v_add_f16_e32 v98, v103, v125
	v_fmac_f16_e32 v30, 0x38b4, v108
	v_fmac_f16_e32 v114, 0x38b4, v106
	;; [unrolled: 1-line block ×8, first 2 shown]
	v_add_f16_e64 v102, v130, v131
	v_add_f16_e64 v103, v133, v134
	;; [unrolled: 1-line block ×4, first 2 shown]
	v_add_f16_e32 v29, v29, v36
	v_add_f16_e32 v36, v79, v101
	;; [unrolled: 1-line block ×3, first 2 shown]
	v_fmac_f16_e64 v34, 0x38b4, v129
	v_fmac_f16_e64 v100, 0xb8b4, v129
	;; [unrolled: 1-line block ×4, first 2 shown]
	v_add_f16_e32 v24, v104, v117
	v_fmac_f16_e64 v115, 0xb8b4, v137
	v_fmac_f16_e64 v105, 0x38b4, v137
	v_fmac_f16_e32 v119, 0xb8b4, v22
	v_fmac_f16_e32 v82, 0x38b4, v22
	v_fmac_f16_e32 v35, 0x34f2, v73
	v_fmac_f16_e32 v99, 0x34f2, v81
	v_add_f16_e32 v23, v23, v37
	v_add_f16_e32 v28, v95, v109
	v_fmac_f16_e32 v112, 0x34f2, v77
	v_fmac_f16_e32 v25, 0x34f2, v77
	;; [unrolled: 1-line block ×22, first 2 shown]
	v_pack_b32_f16 v22, v29, v36
	v_pack_b32_f16 v21, v21, v24
	;; [unrolled: 1-line block ×15, first 2 shown]
	ds_store_2addr_b32 v50, v22, v24 offset1:51
	ds_store_2addr_b32 v50, v28, v25 offset0:102 offset1:153
	ds_store_2addr_b32 v50, v29, v23 offset0:204 offset1:255
	;; [unrolled: 1-line block ×6, first 2 shown]
	ds_store_b32 v60, v43 offset:2856
	global_wb scope:SCOPE_SE
	s_wait_dscnt 0x0
	s_barrier_signal -1
	s_barrier_wait -1
	global_inv scope:SCOPE_SE
	s_clause 0x4
	global_load_b64 v[23:24], v[38:39], off offset:952
	global_load_b64 v[25:26], v41, s[2:3] offset:952
	global_load_b64 v[27:28], v42, s[2:3] offset:952
	;; [unrolled: 1-line block ×4, first 2 shown]
	ds_load_2addr_b32 v[37:38], v50 offset1:51
	ds_load_2addr_b32 v[29:30], v50 offset0:204 offset1:255
	ds_load_2addr_b32 v[34:35], v32 offset0:126 offset1:177
	;; [unrolled: 1-line block ×6, first 2 shown]
	ds_load_b32 v31, v50 offset:2856
	v_lshl_add_u32 v62, v47, 2, v48
	v_lshlrev_b32_e32 v55, 2, v47
	s_delay_alu instid0(VALU_DEP_2) | instskip(NEXT) | instid1(VALU_DEP_2)
	v_add_nc_u32_e32 v91, 0x200, v62
	v_add_nc_u32_e32 v108, v55, v48
	;; [unrolled: 1-line block ×3, first 2 shown]
	s_wait_dscnt 0x7
	v_lshrrev_b32_e32 v97, 16, v37
	s_wait_dscnt 0x6
	v_lshrrev_b32_e32 v36, 16, v30
	;; [unrolled: 2-line block ×4, first 2 shown]
	v_lshrrev_b32_e32 v100, 16, v35
	v_lshrrev_b32_e32 v101, 16, v42
	s_wait_dscnt 0x2
	v_lshrrev_b32_e32 v102, 16, v32
	s_wait_dscnt 0x1
	v_lshrrev_b32_e32 v103, 16, v43
	v_lshrrev_b32_e32 v104, 16, v33
	v_lshrrev_b32_e32 v105, 16, v44
	s_wait_dscnt 0x0
	v_lshrrev_b32_e32 v106, 16, v31
	v_lshrrev_b32_e32 v94, 16, v38
	;; [unrolled: 1-line block ×5, first 2 shown]
	s_wait_loadcnt 0x4
	v_lshrrev_b32_e32 v84, 16, v23
	v_lshrrev_b32_e32 v82, 16, v24
	s_wait_loadcnt 0x3
	v_lshrrev_b32_e32 v81, 16, v25
	v_lshrrev_b32_e32 v80, 16, v26
	;; [unrolled: 3-line block ×5, first 2 shown]
	v_mul_f16_e32 v107, v36, v84
	v_mul_f16_e32 v109, v30, v84
	;; [unrolled: 1-line block ×20, first 2 shown]
	v_fma_f16 v30, v30, v23, -v107
	v_fmac_f16_e32 v109, v36, v23
	v_fma_f16 v34, v34, v24, -v110
	v_fmac_f16_e32 v111, v93, v24
	;; [unrolled: 2-line block ×10, first 2 shown]
	v_add_f16_e32 v31, v37, v30
	v_add_f16_e32 v43, v30, v34
	v_add_f16_e32 v93, v97, v109
	v_add_f16_e32 v99, v109, v111
	v_add_f16_e32 v100, v38, v36
	v_add_f16_e32 v102, v36, v35
	v_add_f16_e32 v105, v94, v113
	v_add_f16_e32 v106, v113, v115
	v_sub_f16_e32 v103, v109, v111
	v_sub_f16_e32 v104, v113, v115
	;; [unrolled: 1-line block ×3, first 2 shown]
	v_add_f16_e32 v36, v39, v41
	v_add_f16_e32 v109, v41, v32
	;; [unrolled: 1-line block ×4, first 2 shown]
	v_sub_f16_e32 v30, v30, v34
	v_sub_f16_e32 v110, v117, v119
	v_add_f16_e32 v116, v42, v101
	v_sub_f16_e32 v117, v121, v123
	v_add_f16_e32 v118, v96, v121
	v_add_f16_e32 v120, v121, v123
	;; [unrolled: 1-line block ×4, first 2 shown]
	v_sub_f16_e32 v124, v125, v127
	v_add_f16_e32 v126, v95, v125
	v_add_f16_e32 v125, v125, v127
	v_sub_f16_e64 v128, v33, v44
	v_add_f16_e32 v31, v31, v34
	v_fma_f16 v33, -0.5, v43, v37
	v_add_f16_e32 v93, v93, v111
	v_fmac_f16_e32 v97, -0.5, v99
	v_add_f16_e32 v34, v100, v35
	v_fmac_f16_e32 v38, -0.5, v102
	;; [unrolled: 2-line block ×3, first 2 shown]
	v_sub_f16_e32 v114, v41, v32
	v_add_f16_e32 v41, v40, v42
	v_add_f16_e32 v43, v36, v32
	v_fma_f16 v35, -0.5, v109, v39
	v_add_f16_e32 v99, v112, v119
	v_fmac_f16_e32 v98, -0.5, v113
	v_sub_f16_e32 v42, v42, v101
	v_fmac_f16_e32 v40, -0.5, v116
	v_fmac_f16_e32 v96, -0.5, v120
	;; [unrolled: 1-line block ×4, first 2 shown]
	v_fmamk_f16 v32, v103, 0x3aee, v33
	v_fmac_f16_e32 v33, 0xbaee, v103
	v_fmamk_f16 v106, v30, 0xbaee, v97
	v_fmac_f16_e32 v97, 0x3aee, v30
	v_fmamk_f16 v37, v104, 0x3aee, v38
	v_fmamk_f16 v103, v107, 0xbaee, v94
	v_pack_b32_f16 v30, v31, v93
	v_pack_b32_f16 v109, v34, v100
	v_fmac_f16_e32 v38, 0xbaee, v104
	v_fmac_f16_e32 v94, 0x3aee, v107
	v_add_f16_e32 v36, v41, v101
	v_add_f16_e32 v41, v121, v44
	v_fmamk_f16 v44, v110, 0x3aee, v35
	v_fmac_f16_e32 v35, 0xbaee, v110
	v_fmamk_f16 v105, v114, 0xbaee, v98
	v_pack_b32_f16 v110, v43, v99
	v_fmac_f16_e32 v98, 0x3aee, v114
	v_add_f16_e32 v102, v118, v123
	v_add_f16_e32 v101, v126, v127
	v_fmamk_f16 v39, v117, 0x3aee, v40
	v_fmac_f16_e32 v40, 0xbaee, v117
	v_fmamk_f16 v107, v42, 0xbaee, v96
	v_fmac_f16_e32 v96, 0x3aee, v42
	;; [unrolled: 2-line block ×3, first 2 shown]
	v_fma_f16 v104, 0xbaee, v128, v95
	v_fmac_f16_e64 v95, 0x3aee, v128
	v_pack_b32_f16 v113, v32, v106
	ds_store_2addr_b32 v62, v30, v109 offset1:51
	v_pack_b32_f16 v30, v37, v103
	v_pack_b32_f16 v114, v33, v97
	;; [unrolled: 1-line block ×3, first 2 shown]
	ds_store_b32 v62, v110 offset:408
	v_pack_b32_f16 v110, v44, v105
	v_pack_b32_f16 v115, v35, v98
	;; [unrolled: 1-line block ×8, first 2 shown]
	ds_store_2addr_b32 v91, v113, v30 offset0:127 offset1:178
	ds_store_2addr_b32 v92, v114, v109 offset0:126 offset1:177
	ds_store_b32 v108, v110 offset:1428
	ds_store_b32 v108, v115 offset:2448
	;; [unrolled: 1-line block ×8, first 2 shown]
	global_wb scope:SCOPE_SE
	s_wait_dscnt 0x0
	s_barrier_signal -1
	s_barrier_wait -1
	global_inv scope:SCOPE_SE
	s_and_saveexec_b32 s2, vcc_lo
	s_cbranch_execz .LBB0_9
; %bb.8:
	s_add_nc_u64 s[0:1], s[8:9], 0xbf4
	s_clause 0x10
	global_load_b32 v30, v45, s[8:9] offset:3060
	global_load_b32 v123, v45, s[0:1] offset:180
	;; [unrolled: 1-line block ×17, first 2 shown]
	v_add_nc_u32_e32 v139, 0x400, v62
	ds_load_2addr_b32 v[91:92], v62 offset1:45
	ds_load_2addr_b32 v[109:110], v62 offset0:90 offset1:135
	v_add_nc_u32_e32 v141, 0x800, v62
	ds_load_2addr_b32 v[111:112], v62 offset0:180 offset1:225
	ds_load_b32 v140, v62 offset:2880
	ds_load_2addr_b32 v[113:114], v139 offset0:14 offset1:59
	ds_load_2addr_b32 v[115:116], v139 offset0:104 offset1:149
	;; [unrolled: 1-line block ×5, first 2 shown]
	s_wait_dscnt 0x8
	v_lshrrev_b32_e32 v142, 16, v91
	v_lshrrev_b32_e32 v143, 16, v92
	s_wait_dscnt 0x7
	v_lshrrev_b32_e32 v144, 16, v109
	v_lshrrev_b32_e32 v145, 16, v110
	;; [unrolled: 3-line block ×5, first 2 shown]
	v_lshrrev_b32_e32 v148, 16, v140
	s_wait_dscnt 0x2
	v_lshrrev_b32_e32 v153, 16, v117
	v_lshrrev_b32_e32 v154, 16, v118
	s_wait_dscnt 0x1
	v_lshrrev_b32_e32 v155, 16, v119
	;; [unrolled: 3-line block ×3, first 2 shown]
	v_lshrrev_b32_e32 v158, 16, v122
	s_wait_loadcnt 0x10
	v_lshrrev_b32_e32 v159, 16, v30
	s_wait_loadcnt 0xf
	;; [unrolled: 2-line block ×17, first 2 shown]
	v_lshrrev_b32_e32 v175, 16, v138
	v_mul_f16_e64 v176, v142, v159
	v_mul_f16_e64 v159, v91, v159
	;; [unrolled: 1-line block ×34, first 2 shown]
	v_fma_f16 v91, v91, v30, -v176
	v_fmac_f16_e64 v159, v142, v30
	v_fma_f16 v30, v92, v123, -v177
	v_fmac_f16_e64 v160, v143, v123
	;; [unrolled: 2-line block ×17, first 2 shown]
	v_pack_b32_f16 v91, v91, v159
	v_pack_b32_f16 v30, v30, v160
	v_pack_b32_f16 v92, v92, v161
	v_pack_b32_f16 v109, v109, v162
	v_pack_b32_f16 v110, v110, v163
	v_pack_b32_f16 v111, v111, v164
	v_pack_b32_f16 v112, v112, v165
	v_pack_b32_f16 v113, v113, v166
	v_pack_b32_f16 v114, v114, v167
	v_pack_b32_f16 v115, v115, v168
	v_pack_b32_f16 v116, v116, v169
	v_pack_b32_f16 v117, v117, v170
	v_pack_b32_f16 v118, v118, v171
	v_pack_b32_f16 v119, v119, v172
	v_pack_b32_f16 v120, v120, v173
	v_pack_b32_f16 v121, v121, v174
	v_pack_b32_f16 v122, v122, v175
	ds_store_2addr_b32 v62, v91, v30 offset1:45
	ds_store_2addr_b32 v62, v92, v109 offset0:90 offset1:135
	ds_store_2addr_b32 v62, v110, v111 offset0:180 offset1:225
	;; [unrolled: 1-line block ×7, first 2 shown]
	ds_store_b32 v62, v122 offset:2880
.LBB0_9:
	s_wait_alu 0xfffe
	s_or_b32 exec_lo, exec_lo, s2
	global_wb scope:SCOPE_SE
	s_wait_dscnt 0x0
	s_barrier_signal -1
	s_barrier_wait -1
	global_inv scope:SCOPE_SE
	s_and_saveexec_b32 s0, vcc_lo
	s_cbranch_execz .LBB0_11
; %bb.10:
	v_add_nc_u32_e32 v29, 0x400, v62
	v_add_nc_u32_e32 v30, 0x800, v62
	ds_load_2addr_b32 v[31:32], v62 offset1:45
	ds_load_2addr_b32 v[33:34], v62 offset0:90 offset1:135
	ds_load_2addr_b32 v[37:38], v62 offset0:180 offset1:225
	;; [unrolled: 1-line block ×7, first 2 shown]
	ds_load_b32 v51, v62 offset:2880
	s_wait_dscnt 0x7
	v_lshrrev_b32_e32 v97, 16, v33
	v_lshrrev_b32_e32 v93, 16, v31
	v_lshrrev_b32_e32 v106, 16, v32
	s_wait_dscnt 0x1
	v_mov_b32_e32 v54, v30
	v_lshrrev_b32_e32 v100, 16, v34
	v_lshrrev_b32_e32 v103, 16, v37
	;; [unrolled: 1-line block ×13, first 2 shown]
	s_wait_dscnt 0x0
	v_lshrrev_b32_e32 v52, 16, v51
.LBB0_11:
	s_wait_alu 0xfffe
	s_or_b32 exec_lo, exec_lo, s0
	v_add_nc_u32_e32 v92, 0x198, v108
	v_add_nc_u32_e32 v91, 0x264, v108
	;; [unrolled: 1-line block ×3, first 2 shown]
	global_wb scope:SCOPE_SE
	s_barrier_signal -1
	s_barrier_wait -1
	global_inv scope:SCOPE_SE
	s_and_saveexec_b32 s0, vcc_lo
	s_cbranch_execz .LBB0_13
; %bb.12:
	v_add_f16_e32 v108, v32, v31
	v_sub_f16_e32 v110, v43, v40
	v_add_f16_e32 v109, v40, v43
	v_add_f16_e32 v117, v51, v32
	v_add_f16_e64 v132, v52, v106
	v_add_f16_e32 v108, v33, v108
	v_add_f16_e64 v133, v53, v97
	v_add_f16_e64 v134, v95, v100
	;; [unrolled: 1-line block ×4, first 2 shown]
	v_add_f16_e32 v108, v34, v108
	v_add_f16_e64 v137, v96, v99
	v_add_f16_e64 v139, v107, v105
	v_sub_f16_e64 v141, v97, v53
	v_sub_f16_e64 v142, v98, v102
	v_add_f16_e32 v108, v37, v108
	v_and_b32_e32 v49, 0xffff, v49
	v_mul_f16_e64 v151, 0x2de8, v133
	v_mul_f16_e64 v178, 0xbbdd, v133
	;; [unrolled: 1-line block ×3, first 2 shown]
	v_add_f16_e32 v108, v38, v108
	v_lshl_add_u32 v48, v49, 2, v48
	s_delay_alu instid0(VALU_DEP_2) | instskip(SKIP_1) | instid1(VALU_DEP_2)
	v_add_f16_e32 v108, v43, v108
	v_add_f16_e32 v43, v39, v44
	;; [unrolled: 1-line block ×3, first 2 shown]
	v_sub_f16_e32 v108, v44, v39
	s_delay_alu instid0(VALU_DEP_2) | instskip(NEXT) | instid1(VALU_DEP_1)
	v_add_f16_e32 v44, v35, v111
	v_add_f16_e32 v44, v36, v44
	s_delay_alu instid0(VALU_DEP_1) | instskip(SKIP_1) | instid1(VALU_DEP_2)
	v_add_f16_e32 v39, v39, v44
	v_sub_f16_e32 v44, v37, v42
	v_add_f16_e32 v111, v40, v39
	v_sub_f16_e32 v39, v38, v41
	v_add_f16_e32 v40, v42, v37
	v_add_f16_e32 v37, v41, v38
	s_delay_alu instid0(VALU_DEP_4) | instskip(NEXT) | instid1(VALU_DEP_1)
	v_add_f16_e32 v38, v41, v111
	v_add_f16_e32 v42, v42, v38
	v_sub_f16_e32 v38, v106, v52
	v_add_f16_e32 v106, v106, v93
	s_delay_alu instid0(VALU_DEP_2)
	v_mul_f16_e32 v111, 0xb836, v38
	v_mul_f16_e32 v113, 0xbbb2, v38
	;; [unrolled: 1-line block ×8, first 2 shown]
	v_fmamk_f16 v119, v117, 0xbacd, v111
	v_fmamk_f16 v121, v117, 0xb461, v113
	v_fma_f16 v113, v117, 0xb461, -v113
	v_fmamk_f16 v124, v117, 0x39e9, v116
	v_fma_f16 v116, v117, 0x39e9, -v116
	v_fmamk_f16 v118, v117, 0xbbdd, v41
	v_fmamk_f16 v122, v117, 0x2de8, v114
	v_fma_f16 v114, v117, 0x2de8, -v114
	v_fmamk_f16 v123, v117, 0x3722, v115
	v_fma_f16 v115, v117, 0x3722, -v115
	;; [unrolled: 2-line block ×3, first 2 shown]
	v_add_f16_e64 v128, v31, v119
	v_add_f16_e32 v119, v31, v113
	v_add_f16_e32 v38, v31, v116
	v_sub_f16_e32 v113, v32, v51
	v_mul_f16_e64 v116, 0x3b76, v132
	v_fma_f16 v41, v117, 0xbbdd, -v41
	v_fma_f16 v111, v117, 0xbacd, -v111
	v_fmamk_f16 v120, v117, 0xb8d2, v112
	v_fma_f16 v112, v117, 0xb8d2, -v112
	v_add_f16_e32 v127, v31, v118
	v_add_f16_e32 v118, v31, v114
	;; [unrolled: 1-line block ×3, first 2 shown]
	v_sub_f16_e32 v114, v33, v54
	v_fmamk_f16 v32, v113, 0x35c8, v116
	v_mul_f16_e64 v115, 0x39e9, v133
	v_add_f16_e64 v129, v31, v120
	v_add_f16_e64 v130, v31, v41
	;; [unrolled: 1-line block ×3, first 2 shown]
	v_add_f16_e32 v120, v31, v112
	v_add_f16_e32 v41, v31, v126
	;; [unrolled: 1-line block ×3, first 2 shown]
	v_sub_f16_e32 v42, v34, v29
	v_add_f16_e32 v111, v54, v33
	v_add_f16_e32 v32, v93, v32
	v_fmamk_f16 v33, v114, 0x3964, v115
	v_mul_f16_e64 v112, 0x3722, v134
	v_add_f16_e32 v121, v31, v121
	v_add_f16_e32 v122, v31, v122
	;; [unrolled: 1-line block ×6, first 2 shown]
	v_sub_f16_e32 v31, v35, v36
	v_add_f16_e32 v29, v36, v35
	v_add_f16_e32 v32, v33, v32
	v_fmamk_f16 v33, v42, 0x3b29, v112
	v_mul_f16_e64 v36, 0x2de8, v135
	v_mul_f16_e64 v35, 0xb461, v136
	v_add_f16_e32 v54, v54, v126
	v_fma_f16 v152, 0x3bf7, v114, v151
	v_add_f16_e32 v32, v33, v32
	v_fmamk_f16 v33, v44, 0x3bf7, v36
	v_fma_f16 v179, 0x31e1, v114, v178
	v_add_f16_e32 v51, v51, v54
	v_mul_f16_e64 v54, 0x3722, v132
	v_fma_f16 v207, 0xbbb2, v114, v206
	v_add_f16_e32 v32, v33, v32
	v_fmamk_f16 v33, v39, 0x3bb2, v35
	v_fmac_f16_e32 v116, 0xb5c8, v113
	v_fmac_f16_e64 v206, 0x3bb2, v114
	v_fmac_f16_e64 v178, 0xb1e1, v114
	;; [unrolled: 1-line block ×3, first 2 shown]
	v_add_f16_e32 v32, v33, v32
	v_mul_f16_e64 v33, 0xb8d2, v137
	v_fmac_f16_e32 v115, 0xb964, v114
	v_fmac_f16_e32 v112, 0xbb29, v42
	;; [unrolled: 1-line block ×4, first 2 shown]
	v_fma_f16 v138, 0x3a62, v110, v33
	v_fmac_f16_e32 v33, 0xba62, v110
	s_delay_alu instid0(VALU_DEP_2) | instskip(SKIP_1) | instid1(VALU_DEP_1)
	v_add_f16_e64 v138, v138, v32
	v_mul_f16_e64 v32, 0xbacd, v139
	v_fma_f16 v140, 0x3836, v108, v32
	v_fmac_f16_e32 v32, 0xb836, v108
	s_delay_alu instid0(VALU_DEP_2) | instskip(SKIP_2) | instid1(VALU_DEP_1)
	v_add_f16_e64 v138, v140, v138
	v_add_f16_e64 v140, v97, v106
	v_mul_f16_e64 v106, 0xb964, v141
	v_fmamk_f16 v97, v111, 0x39e9, v106
	v_fma_f16 v106, v111, 0x39e9, -v106
	s_delay_alu instid0(VALU_DEP_2) | instskip(SKIP_2) | instid1(VALU_DEP_4)
	v_add_f16_e32 v97, v97, v125
	v_add_f16_e64 v125, v100, v140
	v_add_f16_e64 v140, v102, v98
	v_add_f16_e32 v41, v106, v41
	s_delay_alu instid0(VALU_DEP_3) | instskip(SKIP_1) | instid1(VALU_DEP_2)
	v_add_f16_e32 v125, v103, v125
	v_sub_f16_e32 v103, v103, v104
	v_add_f16_e32 v125, v94, v125
	s_delay_alu instid0(VALU_DEP_1) | instskip(SKIP_1) | instid1(VALU_DEP_2)
	v_add_f16_e32 v125, v99, v125
	v_sub_f16_e32 v99, v99, v96
	v_add_f16_e32 v125, v105, v125
	v_sub_f16_e32 v105, v105, v107
	s_delay_alu instid0(VALU_DEP_2) | instskip(NEXT) | instid1(VALU_DEP_1)
	v_add_f16_e32 v125, v98, v125
	v_add_f16_e32 v98, v102, v125
	v_sub_f16_e32 v125, v100, v95
	s_delay_alu instid0(VALU_DEP_2) | instskip(NEXT) | instid1(VALU_DEP_2)
	v_add_f16_e32 v98, v107, v98
	v_mul_f16_e32 v102, 0xbb29, v125
	s_delay_alu instid0(VALU_DEP_2) | instskip(NEXT) | instid1(VALU_DEP_2)
	v_add_f16_e32 v96, v96, v98
	v_fmamk_f16 v100, v34, 0x3722, v102
	s_delay_alu instid0(VALU_DEP_2) | instskip(NEXT) | instid1(VALU_DEP_2)
	v_add_f16_e32 v96, v101, v96
	v_add_f16_e32 v97, v100, v97
	v_mul_f16_e32 v100, 0xbbf7, v103
	s_delay_alu instid0(VALU_DEP_1) | instskip(NEXT) | instid1(VALU_DEP_1)
	v_fmamk_f16 v107, v40, 0x2de8, v100
	v_add_f16_e32 v97, v107, v97
	v_sub_f16_e32 v107, v94, v101
	s_delay_alu instid0(VALU_DEP_1) | instskip(NEXT) | instid1(VALU_DEP_1)
	v_mul_f16_e32 v98, 0xbbb2, v107
	v_fmamk_f16 v94, v37, 0xb461, v98
	s_delay_alu instid0(VALU_DEP_1) | instskip(SKIP_1) | instid1(VALU_DEP_1)
	v_add_f16_e32 v94, v94, v97
	v_mul_f16_e32 v97, 0xba62, v99
	v_fmamk_f16 v101, v109, 0xb8d2, v97
	s_delay_alu instid0(VALU_DEP_1) | instskip(SKIP_2) | instid1(VALU_DEP_2)
	v_add_f16_e32 v94, v101, v94
	v_add_f16_e32 v101, v104, v96
	v_mul_f16_e32 v96, 0xb836, v105
	v_add_f16_e32 v95, v95, v101
	s_delay_alu instid0(VALU_DEP_2) | instskip(NEXT) | instid1(VALU_DEP_2)
	v_fmamk_f16 v104, v43, 0xbacd, v96
	v_add_f16_e32 v95, v53, v95
	s_delay_alu instid0(VALU_DEP_2) | instskip(SKIP_2) | instid1(VALU_DEP_4)
	v_add_f16_e32 v104, v104, v94
	v_mul_f16_e64 v94, 0xbbdd, v140
	v_mul_f16_e64 v53, 0xb1e1, v142
	v_add_f16_e32 v52, v52, v95
	v_fmamk_f16 v95, v113, 0x3b29, v54
	s_delay_alu instid0(VALU_DEP_4) | instskip(NEXT) | instid1(VALU_DEP_4)
	v_fmamk_f16 v101, v31, 0x31e1, v94
	v_fmamk_f16 v126, v29, 0xbbdd, v53
	v_fmac_f16_e32 v54, 0xbb29, v113
	v_pack_b32_f16 v51, v51, v52
	v_add_f16_e32 v95, v93, v95
	v_add_f16_e64 v101, v101, v138
	v_add_f16_e32 v104, v126, v104
	v_add_f16_e32 v54, v93, v54
	v_fmac_f16_e32 v94, 0xb1e1, v31
	s_delay_alu instid0(VALU_DEP_3) | instskip(SKIP_1) | instid1(VALU_DEP_1)
	v_pack_b32_f16 v49, v104, v101
	v_mul_f16_e64 v101, 0xb8d2, v133
	v_fmamk_f16 v104, v114, 0x3a62, v101
	v_fmac_f16_e32 v101, 0xba62, v114
	s_delay_alu instid0(VALU_DEP_2) | instskip(SKIP_1) | instid1(VALU_DEP_3)
	v_add_f16_e32 v95, v104, v95
	v_mul_f16_e64 v104, 0xbbdd, v134
	v_add_f16_e32 v54, v101, v54
	s_delay_alu instid0(VALU_DEP_2) | instskip(SKIP_1) | instid1(VALU_DEP_2)
	v_fmamk_f16 v126, v42, 0xb1e1, v104
	v_fmac_f16_e32 v104, 0x31e1, v42
	v_add_f16_e32 v95, v126, v95
	v_mul_f16_e64 v126, 0xb461, v135
	s_delay_alu instid0(VALU_DEP_3) | instskip(NEXT) | instid1(VALU_DEP_2)
	v_add_f16_e32 v54, v104, v54
	v_fma_f16 v138, 0xbbb2, v44, v126
	v_fmac_f16_e32 v126, 0x3bb2, v44
	s_delay_alu instid0(VALU_DEP_2) | instskip(SKIP_1) | instid1(VALU_DEP_3)
	v_add_f16_e64 v95, v138, v95
	v_mul_f16_e64 v138, 0x39e9, v136
	v_add_f16_e32 v54, v126, v54
	s_delay_alu instid0(VALU_DEP_2) | instskip(SKIP_1) | instid1(VALU_DEP_2)
	v_fma_f16 v143, 0xb964, v39, v138
	v_fmac_f16_e64 v138, 0x3964, v39
	v_add_f16_e64 v95, v143, v95
	v_mul_f16_e64 v143, 0x3b76, v137
	s_delay_alu instid0(VALU_DEP_3) | instskip(NEXT) | instid1(VALU_DEP_2)
	v_add_f16_e64 v54, v138, v54
	v_fma_f16 v144, 0x35c8, v110, v143
	v_fmac_f16_e64 v143, 0xb5c8, v110
	s_delay_alu instid0(VALU_DEP_2) | instskip(SKIP_1) | instid1(VALU_DEP_3)
	v_add_f16_e64 v95, v144, v95
	v_mul_f16_e64 v144, 0xba62, v141
	v_add_f16_e64 v54, v143, v54
	s_delay_alu instid0(VALU_DEP_2) | instskip(SKIP_1) | instid1(VALU_DEP_2)
	v_fma_f16 v145, 0xb8d2, v111, v144
	v_fma_f16 v101, v111, 0xb8d2, -v144
	v_add_f16_e64 v123, v145, v123
	v_mul_f16_e64 v145, 0x2de8, v139
	s_delay_alu instid0(VALU_DEP_3) | instskip(NEXT) | instid1(VALU_DEP_2)
	v_add_f16_e32 v101, v101, v117
	v_fma_f16 v146, 0x3bf7, v108, v145
	v_fmac_f16_e64 v145, 0xbbf7, v108
	s_delay_alu instid0(VALU_DEP_2) | instskip(SKIP_1) | instid1(VALU_DEP_3)
	v_add_f16_e64 v95, v146, v95
	v_mul_f16_e64 v146, 0x31e1, v125
	v_add_f16_e64 v54, v145, v54
	s_delay_alu instid0(VALU_DEP_2) | instskip(SKIP_1) | instid1(VALU_DEP_2)
	v_fma_f16 v147, 0xbbdd, v34, v146
	v_fma_f16 v104, v34, 0xbbdd, -v146
	v_add_f16_e64 v123, v147, v123
	v_mul_f16_e64 v147, 0x3bb2, v103
	s_delay_alu instid0(VALU_DEP_3) | instskip(NEXT) | instid1(VALU_DEP_2)
	v_add_f16_e32 v101, v104, v101
	v_fma_f16 v148, 0xb461, v40, v147
	v_fma_f16 v117, v40, 0xb461, -v147
	s_delay_alu instid0(VALU_DEP_2) | instskip(SKIP_1) | instid1(VALU_DEP_3)
	v_add_f16_e64 v123, v148, v123
	v_mul_f16_e64 v148, 0x3964, v107
	v_add_f16_e32 v101, v117, v101
	s_delay_alu instid0(VALU_DEP_2) | instskip(SKIP_1) | instid1(VALU_DEP_2)
	v_fma_f16 v149, 0x39e9, v37, v148
	v_fma_f16 v117, v37, 0x39e9, -v148
	v_add_f16_e64 v123, v149, v123
	v_mul_f16_e64 v149, 0x39e9, v132
	s_delay_alu instid0(VALU_DEP_3) | instskip(NEXT) | instid1(VALU_DEP_2)
	v_add_f16_e32 v101, v117, v101
	v_fma_f16 v150, 0x3964, v113, v149
	v_fmac_f16_e64 v149, 0xb964, v113
	s_delay_alu instid0(VALU_DEP_2) | instskip(NEXT) | instid1(VALU_DEP_2)
	v_add_f16_e64 v150, v93, v150
	v_add_f16_e64 v104, v93, v149
	s_delay_alu instid0(VALU_DEP_2) | instskip(SKIP_1) | instid1(VALU_DEP_3)
	v_add_f16_e64 v150, v152, v150
	v_mul_f16_e64 v152, 0xb5c8, v99
	v_add_f16_e64 v104, v151, v104
	s_delay_alu instid0(VALU_DEP_2) | instskip(SKIP_1) | instid1(VALU_DEP_2)
	v_fma_f16 v153, 0x3b76, v109, v152
	v_fma_f16 v117, v109, 0x3b76, -v152
	v_add_f16_e64 v123, v153, v123
	v_mul_f16_e64 v153, 0xb8d2, v134
	s_delay_alu instid0(VALU_DEP_3) | instskip(NEXT) | instid1(VALU_DEP_2)
	v_add_f16_e32 v101, v117, v101
	v_fma_f16 v154, 0x3a62, v42, v153
	v_fmac_f16_e64 v153, 0xba62, v42
	s_delay_alu instid0(VALU_DEP_2) | instskip(SKIP_1) | instid1(VALU_DEP_3)
	v_add_f16_e64 v150, v154, v150
	v_mul_f16_e64 v154, 0xbacd, v140
	v_add_f16_e64 v104, v153, v104
	s_delay_alu instid0(VALU_DEP_2) | instskip(SKIP_1) | instid1(VALU_DEP_2)
	v_fma_f16 v155, 0x3836, v31, v154
	v_fmac_f16_e64 v154, 0xb836, v31
	v_add_f16_e64 v95, v155, v95
	v_mul_f16_e64 v155, 0xbbf7, v105
	s_delay_alu instid0(VALU_DEP_1) | instskip(NEXT) | instid1(VALU_DEP_1)
	v_fma_f16 v156, 0x2de8, v43, v155
	v_add_f16_e64 v123, v156, v123
	v_mul_f16_e64 v156, 0xbbdd, v135
	s_delay_alu instid0(VALU_DEP_1) | instskip(SKIP_1) | instid1(VALU_DEP_2)
	v_fma_f16 v157, 0x31e1, v44, v156
	v_fmac_f16_e64 v156, 0xb1e1, v44
	v_add_f16_e64 v150, v157, v150
	v_mul_f16_e64 v157, 0xbacd, v136
	s_delay_alu instid0(VALU_DEP_3) | instskip(NEXT) | instid1(VALU_DEP_2)
	v_add_f16_e64 v104, v156, v104
	v_fma_f16 v158, 0xb836, v39, v157
	v_fmac_f16_e64 v157, 0x3836, v39
	s_delay_alu instid0(VALU_DEP_2) | instskip(SKIP_1) | instid1(VALU_DEP_3)
	v_add_f16_e64 v150, v158, v150
	v_mul_f16_e64 v158, 0xb461, v137
	v_add_f16_e64 v104, v157, v104
	s_delay_alu instid0(VALU_DEP_2) | instskip(SKIP_1) | instid1(VALU_DEP_2)
	v_fma_f16 v159, 0xbbb2, v110, v158
	v_fmac_f16_e64 v158, 0x3bb2, v110
	v_add_f16_e64 v150, v159, v150
	v_mul_f16_e64 v159, 0xbbf7, v141
	s_delay_alu instid0(VALU_DEP_1) | instskip(NEXT) | instid1(VALU_DEP_1)
	v_fma_f16 v160, 0x2de8, v111, v159
	v_add_f16_e64 v124, v160, v124
	v_mul_f16_e64 v160, 0xb836, v142
	s_delay_alu instid0(VALU_DEP_1) | instskip(NEXT) | instid1(VALU_DEP_1)
	v_fma_f16 v161, 0xbacd, v29, v160
	v_add_f16_e64 v123, v161, v123
	v_mul_f16_e64 v161, 0x3722, v139
	s_delay_alu instid0(VALU_DEP_2) | instskip(NEXT) | instid1(VALU_DEP_2)
	v_pack_b32_f16 v52, v123, v95
	v_fma_f16 v162, 0xbb29, v108, v161
	v_mul_f16_e64 v123, 0xbacd, v133
	v_fmac_f16_e64 v161, 0x3b29, v108
	s_delay_alu instid0(VALU_DEP_3) | instskip(SKIP_1) | instid1(VALU_DEP_1)
	v_add_f16_e64 v150, v162, v150
	v_mul_f16_e64 v162, 0xba62, v125
	v_fma_f16 v163, 0xb8d2, v34, v162
	s_delay_alu instid0(VALU_DEP_1) | instskip(SKIP_1) | instid1(VALU_DEP_1)
	v_add_f16_e64 v124, v163, v124
	v_mul_f16_e64 v163, 0xb1e1, v103
	v_fma_f16 v164, 0xbbdd, v40, v163
	s_delay_alu instid0(VALU_DEP_1) | instskip(SKIP_1) | instid1(VALU_DEP_1)
	;; [unrolled: 4-line block ×4, first 2 shown]
	v_add_f16_e64 v124, v166, v124
	v_mul_f16_e64 v166, 0x3b76, v140
	v_fma_f16 v167, 0xb5c8, v31, v166
	v_fmac_f16_e64 v166, 0x35c8, v31
	s_delay_alu instid0(VALU_DEP_2) | instskip(SKIP_1) | instid1(VALU_DEP_1)
	v_add_f16_e64 v150, v167, v150
	v_mul_f16_e64 v167, 0x3b29, v105
	v_fma_f16 v168, 0x3722, v43, v167
	s_delay_alu instid0(VALU_DEP_1) | instskip(SKIP_1) | instid1(VALU_DEP_1)
	v_add_f16_e64 v124, v168, v124
	v_mul_f16_e64 v168, 0x35c8, v142
	v_fma_f16 v169, 0x3b76, v29, v168
	s_delay_alu instid0(VALU_DEP_1) | instskip(NEXT) | instid1(VALU_DEP_1)
	v_add_f16_e64 v124, v169, v124
	v_pack_b32_f16 v95, v124, v150
	ds_store_2addr_b32 v48, v51, v49 offset1:1
	v_mul_f16_e64 v49, 0xb461, v132
	v_fmamk_f16 v124, v114, 0xb836, v123
	v_fmac_f16_e32 v123, 0x3836, v114
	ds_store_2addr_b32 v48, v95, v52 offset0:2 offset1:3
	v_mul_f16_e64 v52, 0xbacd, v132
	v_fmamk_f16 v51, v113, 0x3bb2, v49
	v_fmac_f16_e32 v49, 0xbbb2, v113
	s_delay_alu instid0(VALU_DEP_3) | instskip(NEXT) | instid1(VALU_DEP_3)
	v_fmamk_f16 v95, v113, 0x3836, v52
	v_add_f16_e32 v51, v93, v51
	v_fmac_f16_e32 v52, 0xb836, v113
	s_delay_alu instid0(VALU_DEP_4) | instskip(NEXT) | instid1(VALU_DEP_4)
	v_add_f16_e32 v49, v93, v49
	v_add_f16_e32 v95, v93, v95
	s_delay_alu instid0(VALU_DEP_4) | instskip(SKIP_3) | instid1(VALU_DEP_3)
	v_add_f16_e32 v51, v124, v51
	v_mul_f16_e64 v124, 0x39e9, v134
	v_add_f16_e32 v52, v93, v52
	v_add_f16_e32 v49, v123, v49
	v_fma_f16 v150, 0xb964, v42, v124
	v_fmac_f16_e32 v124, 0x3964, v42
	s_delay_alu instid0(VALU_DEP_2) | instskip(SKIP_1) | instid1(VALU_DEP_3)
	v_add_f16_e64 v51, v150, v51
	v_mul_f16_e64 v150, 0x3722, v135
	v_add_f16_e32 v49, v124, v49
	s_delay_alu instid0(VALU_DEP_2) | instskip(SKIP_1) | instid1(VALU_DEP_2)
	v_fma_f16 v169, 0x3b29, v44, v150
	v_fmac_f16_e64 v150, 0xbb29, v44
	v_add_f16_e64 v51, v169, v51
	v_mul_f16_e64 v169, 0xbbdd, v136
	s_delay_alu instid0(VALU_DEP_3) | instskip(NEXT) | instid1(VALU_DEP_2)
	v_add_f16_e64 v49, v150, v49
	v_fma_f16 v170, 0x31e1, v39, v169
	v_fmac_f16_e64 v169, 0xb1e1, v39
	s_delay_alu instid0(VALU_DEP_2) | instskip(SKIP_1) | instid1(VALU_DEP_3)
	v_add_f16_e64 v51, v170, v51
	v_mul_f16_e64 v170, 0x2de8, v137
	v_add_f16_e64 v49, v169, v49
	s_delay_alu instid0(VALU_DEP_2) | instskip(SKIP_1) | instid1(VALU_DEP_2)
	v_fma_f16 v171, 0xbbf7, v110, v170
	v_fmac_f16_e64 v170, 0x3bf7, v110
	v_add_f16_e64 v51, v171, v51
	v_mul_f16_e64 v171, 0x3836, v141
	s_delay_alu instid0(VALU_DEP_3) | instskip(NEXT) | instid1(VALU_DEP_2)
	v_add_f16_e64 v49, v170, v49
	v_fma_f16 v172, 0xbacd, v111, v171
	s_delay_alu instid0(VALU_DEP_1) | instskip(SKIP_1) | instid1(VALU_DEP_1)
	v_add_f16_e64 v121, v172, v121
	v_mul_f16_e64 v172, 0x3b76, v139
	v_fma_f16 v173, 0x35c8, v108, v172
	v_fmac_f16_e64 v172, 0xb5c8, v108
	s_delay_alu instid0(VALU_DEP_2) | instskip(SKIP_1) | instid1(VALU_DEP_3)
	v_add_f16_e64 v51, v173, v51
	v_mul_f16_e64 v173, 0x3964, v125
	v_add_f16_e64 v49, v172, v49
	s_delay_alu instid0(VALU_DEP_2) | instskip(NEXT) | instid1(VALU_DEP_1)
	v_fma_f16 v174, 0x39e9, v34, v173
	v_add_f16_e64 v121, v174, v121
	v_mul_f16_e64 v174, 0xbb29, v103
	s_delay_alu instid0(VALU_DEP_1) | instskip(NEXT) | instid1(VALU_DEP_1)
	v_fma_f16 v175, 0x3722, v40, v174
	v_add_f16_e64 v121, v175, v121
	v_mul_f16_e64 v175, 0xb1e1, v107
	s_delay_alu instid0(VALU_DEP_1) | instskip(NEXT) | instid1(VALU_DEP_1)
	v_fma_f16 v176, 0xbbdd, v37, v175
	v_add_f16_e64 v121, v176, v121
	v_mul_f16_e64 v176, 0x2de8, v132
	s_delay_alu instid0(VALU_DEP_1) | instskip(SKIP_1) | instid1(VALU_DEP_2)
	v_fma_f16 v177, 0x3bf7, v113, v176
	v_fmac_f16_e64 v176, 0xbbf7, v113
	v_add_f16_e64 v177, v93, v177
	s_delay_alu instid0(VALU_DEP_1) | instskip(SKIP_1) | instid1(VALU_DEP_1)
	v_add_f16_e64 v177, v179, v177
	v_mul_f16_e64 v179, 0x3bf7, v99
	v_fma_f16 v180, 0x2de8, v109, v179
	s_delay_alu instid0(VALU_DEP_1) | instskip(SKIP_1) | instid1(VALU_DEP_1)
	v_add_f16_e64 v121, v180, v121
	v_mul_f16_e64 v180, 0xb461, v134
	v_fma_f16 v181, 0xbbb2, v42, v180
	v_fmac_f16_e64 v180, 0x3bb2, v42
	s_delay_alu instid0(VALU_DEP_2) | instskip(SKIP_1) | instid1(VALU_DEP_1)
	v_add_f16_e64 v177, v181, v177
	v_mul_f16_e64 v181, 0xb8d2, v140
	v_fma_f16 v182, 0x3a62, v31, v181
	v_fmac_f16_e64 v181, 0xba62, v31
	s_delay_alu instid0(VALU_DEP_2) | instskip(SKIP_1) | instid1(VALU_DEP_3)
	v_add_f16_e64 v51, v182, v51
	v_mul_f16_e64 v182, 0xb5c8, v105
	v_add_f16_e64 v49, v181, v49
	s_delay_alu instid0(VALU_DEP_2) | instskip(NEXT) | instid1(VALU_DEP_1)
	v_fma_f16 v183, 0x3b76, v43, v182
	v_add_f16_e64 v121, v183, v121
	v_mul_f16_e64 v183, 0x3b76, v135
	s_delay_alu instid0(VALU_DEP_1) | instskip(SKIP_1) | instid1(VALU_DEP_2)
	v_fma_f16 v184, 0xb5c8, v44, v183
	v_fmac_f16_e64 v183, 0x35c8, v44
	v_add_f16_e64 v177, v184, v177
	v_mul_f16_e64 v184, 0x3722, v136
	s_delay_alu instid0(VALU_DEP_1) | instskip(SKIP_1) | instid1(VALU_DEP_2)
	v_fma_f16 v185, 0x3b29, v39, v184
	v_fmac_f16_e64 v184, 0xbb29, v39
	;; [unrolled: 5-line block ×3, first 2 shown]
	v_add_f16_e64 v177, v186, v177
	v_mul_f16_e64 v186, 0xb1e1, v141
	s_delay_alu instid0(VALU_DEP_1) | instskip(NEXT) | instid1(VALU_DEP_1)
	v_fma_f16 v187, 0xbbdd, v111, v186
	v_add_f16_e64 v122, v187, v122
	v_mul_f16_e64 v187, 0xba62, v142
	s_delay_alu instid0(VALU_DEP_1) | instskip(NEXT) | instid1(VALU_DEP_1)
	v_fma_f16 v188, 0xb8d2, v29, v187
	v_add_f16_e64 v121, v188, v121
	v_mul_f16_e64 v188, 0xb8d2, v139
	s_delay_alu instid0(VALU_DEP_2) | instskip(NEXT) | instid1(VALU_DEP_2)
	v_pack_b32_f16 v51, v121, v51
	v_fma_f16 v189, 0xba62, v108, v188
	v_fmac_f16_e64 v188, 0x3a62, v108
	s_delay_alu instid0(VALU_DEP_2) | instskip(SKIP_1) | instid1(VALU_DEP_1)
	v_add_f16_e64 v177, v189, v177
	v_mul_f16_e64 v189, 0x3bb2, v125
	v_fma_f16 v190, 0xb461, v34, v189
	s_delay_alu instid0(VALU_DEP_1) | instskip(SKIP_1) | instid1(VALU_DEP_1)
	v_add_f16_e64 v122, v190, v122
	v_mul_f16_e64 v190, 0x35c8, v103
	v_fma_f16 v191, 0x3b76, v40, v190
	s_delay_alu instid0(VALU_DEP_1) | instskip(SKIP_1) | instid1(VALU_DEP_1)
	;; [unrolled: 4-line block ×4, first 2 shown]
	v_add_f16_e64 v122, v193, v122
	v_mul_f16_e64 v193, 0x39e9, v140
	v_fma_f16 v194, 0xb964, v31, v193
	v_fmac_f16_e64 v193, 0x3964, v31
	s_delay_alu instid0(VALU_DEP_2) | instskip(SKIP_1) | instid1(VALU_DEP_1)
	v_add_f16_e64 v177, v194, v177
	v_mul_f16_e64 v194, 0x3a62, v105
	v_fma_f16 v195, 0xb8d2, v43, v194
	s_delay_alu instid0(VALU_DEP_1) | instskip(SKIP_1) | instid1(VALU_DEP_1)
	v_add_f16_e64 v122, v195, v122
	v_mul_f16_e64 v195, 0x3964, v142
	v_fma_f16 v196, 0x39e9, v29, v195
	s_delay_alu instid0(VALU_DEP_1) | instskip(NEXT) | instid1(VALU_DEP_1)
	v_add_f16_e64 v122, v196, v122
	v_pack_b32_f16 v121, v122, v177
	v_mul_f16_e64 v122, 0x3722, v133
	s_delay_alu instid0(VALU_DEP_1) | instskip(SKIP_1) | instid1(VALU_DEP_2)
	v_fma_f16 v177, 0xbb29, v114, v122
	v_fmac_f16_e32 v122, 0x3b29, v114
	v_add_f16_e64 v95, v177, v95
	v_mul_f16_e64 v177, 0x2de8, v134
	s_delay_alu instid0(VALU_DEP_3) | instskip(NEXT) | instid1(VALU_DEP_2)
	v_add_f16_e32 v52, v122, v52
	v_fma_f16 v196, 0x3bf7, v42, v177
	v_fmac_f16_e64 v177, 0xbbf7, v42
	s_delay_alu instid0(VALU_DEP_2) | instskip(SKIP_1) | instid1(VALU_DEP_3)
	v_add_f16_e64 v95, v196, v95
	v_mul_f16_e64 v196, 0xb8d2, v135
	v_add_f16_e64 v52, v177, v52
	s_delay_alu instid0(VALU_DEP_2) | instskip(SKIP_1) | instid1(VALU_DEP_2)
	v_fma_f16 v197, 0xba62, v44, v196
	v_fmac_f16_e64 v196, 0x3a62, v44
	v_add_f16_e64 v95, v197, v95
	v_mul_f16_e64 v197, 0x3b76, v136
	s_delay_alu instid0(VALU_DEP_3) | instskip(NEXT) | instid1(VALU_DEP_2)
	v_add_f16_e64 v52, v196, v52
	v_fma_f16 v198, 0x35c8, v39, v197
	v_fmac_f16_e64 v197, 0xb5c8, v39
	s_delay_alu instid0(VALU_DEP_2) | instskip(SKIP_1) | instid1(VALU_DEP_3)
	v_add_f16_e64 v95, v198, v95
	v_mul_f16_e64 v198, 0xbbdd, v137
	v_add_f16_e64 v52, v197, v52
	s_delay_alu instid0(VALU_DEP_2) | instskip(SKIP_1) | instid1(VALU_DEP_2)
	v_fma_f16 v199, 0x31e1, v110, v198
	v_fmac_f16_e64 v198, 0xb1e1, v110
	v_add_f16_e64 v95, v199, v95
	v_mul_f16_e64 v199, 0x3b29, v141
	s_delay_alu instid0(VALU_DEP_3) | instskip(NEXT) | instid1(VALU_DEP_2)
	v_add_f16_e64 v52, v198, v52
	v_fma_f16 v200, 0x3722, v111, v199
	s_delay_alu instid0(VALU_DEP_1) | instskip(SKIP_1) | instid1(VALU_DEP_1)
	v_add_f16_e64 v128, v200, v128
	v_mul_f16_e64 v200, 0x39e9, v139
	v_fma_f16 v201, 0xb964, v108, v200
	v_fmac_f16_e64 v200, 0x3964, v108
	s_delay_alu instid0(VALU_DEP_2) | instskip(SKIP_1) | instid1(VALU_DEP_3)
	v_add_f16_e64 v95, v201, v95
	v_mul_f16_e64 v201, 0xbbf7, v125
	v_add_f16_e64 v52, v200, v52
	s_delay_alu instid0(VALU_DEP_2) | instskip(NEXT) | instid1(VALU_DEP_1)
	v_fma_f16 v202, 0x2de8, v34, v201
	v_add_f16_e64 v128, v202, v128
	v_mul_f16_e64 v202, 0x3a62, v103
	s_delay_alu instid0(VALU_DEP_1) | instskip(NEXT) | instid1(VALU_DEP_1)
	v_fma_f16 v203, 0xb8d2, v40, v202
	v_add_f16_e64 v128, v203, v128
	v_mul_f16_e64 v203, 0xb5c8, v107
	s_delay_alu instid0(VALU_DEP_1) | instskip(NEXT) | instid1(VALU_DEP_1)
	v_fma_f16 v204, 0x3b76, v37, v203
	v_add_f16_e64 v128, v204, v128
	v_mul_f16_e64 v204, 0xb8d2, v132
	s_delay_alu instid0(VALU_DEP_1) | instskip(SKIP_1) | instid1(VALU_DEP_2)
	v_fma_f16 v205, 0x3a62, v113, v204
	v_fmac_f16_e64 v204, 0xba62, v113
	v_add_f16_e64 v205, v93, v205
	s_delay_alu instid0(VALU_DEP_1) | instskip(SKIP_1) | instid1(VALU_DEP_1)
	v_add_f16_e64 v205, v207, v205
	v_mul_f16_e64 v207, 0xb1e1, v99
	v_fma_f16 v208, 0xbbdd, v109, v207
	s_delay_alu instid0(VALU_DEP_1) | instskip(SKIP_1) | instid1(VALU_DEP_1)
	v_add_f16_e64 v128, v208, v128
	v_mul_f16_e64 v208, 0x3b76, v134
	v_fma_f16 v209, 0x35c8, v42, v208
	v_fmac_f16_e64 v208, 0xb5c8, v42
	s_delay_alu instid0(VALU_DEP_2) | instskip(SKIP_1) | instid1(VALU_DEP_1)
	v_add_f16_e64 v205, v209, v205
	v_mul_f16_e64 v209, 0xb461, v140
	v_fma_f16 v210, 0x3bb2, v31, v209
	v_fmac_f16_e64 v209, 0xbbb2, v31
	s_delay_alu instid0(VALU_DEP_2) | instskip(SKIP_1) | instid1(VALU_DEP_3)
	v_add_f16_e64 v95, v210, v95
	v_mul_f16_e64 v210, 0x3964, v105
	v_add_f16_e64 v52, v209, v52
	s_delay_alu instid0(VALU_DEP_2) | instskip(NEXT) | instid1(VALU_DEP_1)
	v_fma_f16 v211, 0x39e9, v43, v210
	v_add_f16_e64 v128, v211, v128
	v_mul_f16_e64 v211, 0xbacd, v135
	s_delay_alu instid0(VALU_DEP_1) | instskip(SKIP_1) | instid1(VALU_DEP_2)
	v_fma_f16 v212, 0x3836, v44, v211
	v_fmac_f16_e64 v211, 0xb836, v44
	v_add_f16_e64 v205, v212, v205
	v_mul_f16_e64 v212, 0x2de8, v136
	s_delay_alu instid0(VALU_DEP_1) | instskip(SKIP_1) | instid1(VALU_DEP_2)
	v_fma_f16 v213, 0xbbf7, v39, v212
	v_fmac_f16_e64 v212, 0x3bf7, v39
	;; [unrolled: 5-line block ×3, first 2 shown]
	v_add_f16_e64 v205, v214, v205
	v_mul_f16_e64 v214, 0x3bb2, v141
	s_delay_alu instid0(VALU_DEP_1) | instskip(NEXT) | instid1(VALU_DEP_1)
	v_fma_f16 v215, 0xb461, v111, v214
	v_add_f16_e64 v129, v215, v129
	v_mul_f16_e64 v215, 0xbbb2, v142
	s_delay_alu instid0(VALU_DEP_1) | instskip(NEXT) | instid1(VALU_DEP_1)
	v_fma_f16 v216, 0xb461, v29, v215
	v_add_f16_e64 v128, v216, v128
	v_mul_f16_e64 v216, 0xbbdd, v139
	s_delay_alu instid0(VALU_DEP_2) | instskip(NEXT) | instid1(VALU_DEP_2)
	v_pack_b32_f16 v95, v128, v95
	v_fma_f16 v217, 0x31e1, v108, v216
	v_fmac_f16_e64 v216, 0xb1e1, v108
	s_delay_alu instid0(VALU_DEP_2) | instskip(SKIP_2) | instid1(VALU_DEP_2)
	v_add_f16_e64 v205, v217, v205
	v_mul_f16_e64 v217, 0xb5c8, v125
	v_mul_f16_e32 v125, 0xb836, v125
	v_fma_f16 v218, 0x3b76, v34, v217
	s_delay_alu instid0(VALU_DEP_2) | instskip(NEXT) | instid1(VALU_DEP_2)
	v_fma_f16 v122, v34, 0xbacd, -v125
	v_add_f16_e64 v129, v218, v129
	v_mul_f16_e64 v218, 0xb836, v103
	v_mul_f16_e32 v103, 0x3964, v103
	s_delay_alu instid0(VALU_DEP_2) | instskip(NEXT) | instid1(VALU_DEP_1)
	v_fma_f16 v219, 0xbacd, v40, v218
	v_add_f16_e64 v129, v219, v129
	v_mul_f16_e64 v219, 0x3bf7, v107
	v_mul_f16_e32 v107, 0xba62, v107
	s_delay_alu instid0(VALU_DEP_2) | instskip(NEXT) | instid1(VALU_DEP_1)
	v_fma_f16 v220, 0x2de8, v37, v219
	;; [unrolled: 5-line block ×3, first 2 shown]
	v_add_f16_e64 v129, v221, v129
	v_mul_f16_e64 v221, 0x3722, v140
	s_delay_alu instid0(VALU_DEP_1) | instskip(SKIP_1) | instid1(VALU_DEP_2)
	v_fma_f16 v222, 0xbb29, v31, v221
	v_fmac_f16_e64 v221, 0x3b29, v31
	v_add_f16_e64 v205, v222, v205
	v_mul_f16_e64 v222, 0xb1e1, v105
	v_mul_f16_e32 v105, 0xbbb2, v105
	s_delay_alu instid0(VALU_DEP_2) | instskip(NEXT) | instid1(VALU_DEP_1)
	v_fma_f16 v223, 0xbbdd, v43, v222
	v_add_f16_e64 v129, v223, v129
	v_mul_f16_e64 v223, 0x3b29, v142
	s_delay_alu instid0(VALU_DEP_1) | instskip(NEXT) | instid1(VALU_DEP_1)
	v_fma_f16 v224, 0x3722, v29, v223
	v_add_f16_e64 v129, v224, v129
	s_delay_alu instid0(VALU_DEP_1) | instskip(SKIP_4) | instid1(VALU_DEP_2)
	v_pack_b32_f16 v128, v129, v205
	ds_store_2addr_b32 v48, v121, v51 offset0:4 offset1:5
	ds_store_2addr_b32 v48, v128, v95 offset0:6 offset1:7
	v_mul_f16_e64 v51, 0xbbdd, v132
	v_mul_f16_e64 v95, 0x3b76, v133
	v_fmamk_f16 v121, v113, 0x31e1, v51
	s_delay_alu instid0(VALU_DEP_2) | instskip(SKIP_4) | instid1(VALU_DEP_4)
	v_fma_f16 v128, 0xb5c8, v114, v95
	v_fmac_f16_e32 v51, 0xb1e1, v113
	v_fmac_f16_e32 v95, 0x35c8, v114
	v_fma_f16 v113, v111, 0x2de8, -v159
	v_add_f16_e32 v121, v93, v121
	v_add_f16_e32 v51, v93, v51
	s_delay_alu instid0(VALU_DEP_3) | instskip(NEXT) | instid1(VALU_DEP_3)
	v_add_f16_e32 v38, v113, v38
	v_add_f16_e64 v121, v128, v121
	v_mul_f16_e64 v128, 0xbacd, v134
	s_delay_alu instid0(VALU_DEP_4) | instskip(NEXT) | instid1(VALU_DEP_2)
	v_add_f16_e32 v51, v95, v51
	v_fma_f16 v129, 0x3836, v42, v128
	v_fmac_f16_e64 v128, 0xb836, v42
	v_fma_f16 v42, v34, 0xb8d2, -v162
	s_delay_alu instid0(VALU_DEP_3) | instskip(SKIP_1) | instid1(VALU_DEP_4)
	v_add_f16_e64 v121, v129, v121
	v_mul_f16_e64 v129, 0x39e9, v135
	v_add_f16_e64 v51, v128, v51
	s_delay_alu instid0(VALU_DEP_4) | instskip(NEXT) | instid1(VALU_DEP_3)
	v_add_f16_e32 v38, v42, v38
	v_fma_f16 v132, 0xb964, v44, v129
	v_fmac_f16_e64 v129, 0x3964, v44
	v_add_f16_e64 v44, v158, v104
	s_delay_alu instid0(VALU_DEP_3) | instskip(SKIP_1) | instid1(VALU_DEP_4)
	v_add_f16_e64 v121, v132, v121
	v_mul_f16_e64 v132, 0xb8d2, v136
	v_add_f16_e64 v51, v129, v51
	s_delay_alu instid0(VALU_DEP_2) | instskip(SKIP_2) | instid1(VALU_DEP_3)
	v_fma_f16 v133, 0x3a62, v39, v132
	v_fmac_f16_e64 v132, 0xba62, v39
	v_fma_f16 v39, v37, 0xbacd, -v164
	v_add_f16_e64 v121, v133, v121
	v_mul_f16_e64 v133, 0x3722, v137
	s_delay_alu instid0(VALU_DEP_4) | instskip(NEXT) | instid1(VALU_DEP_2)
	v_add_f16_e64 v51, v132, v51
	v_fma_f16 v134, 0xbb29, v110, v133
	v_fmac_f16_e64 v133, 0x3b29, v110
	s_delay_alu instid0(VALU_DEP_2) | instskip(SKIP_1) | instid1(VALU_DEP_3)
	v_add_f16_e64 v121, v134, v121
	v_mul_f16_e64 v134, 0x35c8, v141
	v_add_f16_e64 v51, v133, v51
	s_delay_alu instid0(VALU_DEP_2) | instskip(SKIP_1) | instid1(VALU_DEP_2)
	v_fma_f16 v135, 0x3b76, v111, v134
	v_fma_f16 v95, v111, 0x3b76, -v134
	v_add_f16_e64 v127, v135, v127
	v_fma_f16 v135, 0xbacd, v34, v125
	s_delay_alu instid0(VALU_DEP_3) | instskip(NEXT) | instid1(VALU_DEP_2)
	v_add_f16_e64 v95, v95, v130
	v_add_f16_e64 v127, v135, v127
	v_mul_f16_e64 v135, 0xb461, v139
	s_delay_alu instid0(VALU_DEP_3) | instskip(SKIP_1) | instid1(VALU_DEP_3)
	v_add_f16_e32 v95, v122, v95
	v_fma_f16 v122, v111, 0x3722, -v199
	v_fma_f16 v136, 0x3bb2, v108, v135
	v_fmac_f16_e64 v135, 0xbbb2, v108
	s_delay_alu instid0(VALU_DEP_3) | instskip(NEXT) | instid1(VALU_DEP_3)
	v_add_f16_e64 v122, v122, v131
	v_add_f16_e64 v121, v136, v121
	v_fma_f16 v136, 0x39e9, v40, v103
	v_fma_f16 v103, v40, 0x39e9, -v103
	v_add_f16_e64 v51, v135, v51
	s_delay_alu instid0(VALU_DEP_3) | instskip(SKIP_1) | instid1(VALU_DEP_4)
	v_add_f16_e64 v127, v136, v127
	v_fma_f16 v136, 0xb8d2, v37, v107
	v_add_f16_e32 v95, v103, v95
	v_fma_f16 v103, v34, 0x2de8, -v201
	v_fma_f16 v107, v37, 0xb8d2, -v107
	s_delay_alu instid0(VALU_DEP_4) | instskip(SKIP_1) | instid1(VALU_DEP_4)
	v_add_f16_e64 v127, v136, v127
	v_fma_f16 v136, 0x3722, v109, v99
	v_add_f16_e32 v103, v103, v122
	s_delay_alu instid0(VALU_DEP_4) | instskip(SKIP_4) | instid1(VALU_DEP_4)
	v_add_f16_e32 v95, v107, v95
	v_fma_f16 v107, v40, 0xb8d2, -v202
	v_fma_f16 v99, v109, 0x3722, -v99
	v_add_f16_e64 v127, v136, v127
	v_mul_f16_e64 v136, 0x2de8, v140
	v_add_f16_e32 v103, v107, v103
	s_delay_alu instid0(VALU_DEP_4) | instskip(SKIP_1) | instid1(VALU_DEP_4)
	v_add_f16_e32 v95, v99, v95
	v_fma_f16 v99, v37, 0x3b76, -v203
	v_fma_f16 v137, 0xbbf7, v31, v136
	v_fma_f16 v107, v34, 0x3b76, -v217
	v_fmac_f16_e64 v136, 0x3bf7, v31
	s_delay_alu instid0(VALU_DEP_4) | instskip(NEXT) | instid1(VALU_DEP_4)
	v_add_f16_e32 v99, v99, v103
	v_add_f16_e64 v121, v137, v121
	v_fma_f16 v137, 0xb461, v43, v105
	v_fma_f16 v103, v43, 0xb461, -v105
	v_fma_f16 v105, v111, 0xb461, -v214
	v_add_f16_e64 v51, v136, v51
	s_delay_alu instid0(VALU_DEP_4) | instskip(SKIP_1) | instid1(VALU_DEP_4)
	v_add_f16_e64 v127, v137, v127
	v_mul_f16_e64 v137, 0x3bf7, v142
	v_add_f16_e32 v105, v105, v120
	v_fma_f16 v120, v34, 0x39e9, -v173
	v_add_f16_e32 v95, v103, v95
	v_fma_f16 v103, v109, 0xbbdd, -v207
	v_fma_f16 v139, 0x2de8, v29, v137
	v_add_f16_e32 v105, v107, v105
	v_fma_f16 v107, v40, 0xbacd, -v218
	s_delay_alu instid0(VALU_DEP_4) | instskip(SKIP_2) | instid1(VALU_DEP_4)
	v_add_f16_e32 v99, v103, v99
	v_fma_f16 v103, v29, 0x2de8, -v137
	v_add_f16_e64 v127, v139, v127
	v_add_f16_e32 v105, v107, v105
	v_fma_f16 v107, v37, 0x2de8, -v219
	s_delay_alu instid0(VALU_DEP_4) | instskip(SKIP_1) | instid1(VALU_DEP_3)
	v_add_f16_e32 v95, v103, v95
	v_fma_f16 v103, v43, 0x39e9, -v210
	v_add_f16_e32 v105, v107, v105
	v_fma_f16 v107, v109, 0x39e9, -v220
	s_delay_alu instid0(VALU_DEP_3) | instskip(SKIP_1) | instid1(VALU_DEP_3)
	v_add_f16_e32 v99, v103, v99
	v_fma_f16 v103, v29, 0xb461, -v215
	v_add_f16_e32 v105, v107, v105
	v_fma_f16 v107, v43, 0xbbdd, -v222
	s_delay_alu instid0(VALU_DEP_3) | instskip(SKIP_1) | instid1(VALU_DEP_3)
	v_add_f16_e32 v99, v103, v99
	v_add_f16_e64 v103, v93, v204
	v_add_f16_e32 v105, v107, v105
	v_fma_f16 v107, v29, 0x3722, -v223
	s_delay_alu instid0(VALU_DEP_3) | instskip(NEXT) | instid1(VALU_DEP_2)
	v_add_f16_e64 v103, v206, v103
	v_add_f16_e32 v105, v107, v105
	v_fma_f16 v107, v111, 0xbacd, -v171
	s_delay_alu instid0(VALU_DEP_3) | instskip(NEXT) | instid1(VALU_DEP_2)
	v_add_f16_e64 v103, v208, v103
	v_add_f16_e32 v107, v107, v119
	v_add_f16_e64 v119, v93, v176
	v_add_f16_e32 v93, v93, v116
	s_delay_alu instid0(VALU_DEP_4) | instskip(NEXT) | instid1(VALU_DEP_4)
	v_add_f16_e64 v103, v211, v103
	v_add_f16_e32 v107, v120, v107
	v_fma_f16 v120, v111, 0xbbdd, -v186
	v_add_f16_e64 v119, v178, v119
	v_add_f16_e32 v93, v115, v93
	v_add_f16_e64 v103, v212, v103
	s_delay_alu instid0(VALU_DEP_4) | instskip(SKIP_4) | instid1(VALU_DEP_4)
	v_add_f16_e32 v118, v120, v118
	v_fma_f16 v120, v40, 0x3722, -v174
	v_add_f16_e64 v119, v180, v119
	v_add_f16_e32 v42, v112, v93
	v_add_f16_e64 v103, v213, v103
	v_add_f16_e32 v107, v120, v107
	v_fma_f16 v120, v34, 0xb461, -v189
	v_fma_f16 v34, v34, 0x3722, -v102
	v_add_f16_e64 v119, v183, v119
	v_add_f16_e32 v36, v36, v42
	v_fma_f16 v102, v43, 0x2de8, -v155
	v_add_f16_e32 v118, v120, v118
	v_fma_f16 v120, v37, 0xbbdd, -v175
	;; [unrolled: 2-line block ×3, first 2 shown]
	v_add_f16_e64 v119, v184, v119
	v_add_f16_e32 v35, v35, v36
	v_add_f16_e32 v107, v120, v107
	v_fma_f16 v120, v40, 0x3b76, -v190
	v_fma_f16 v40, v40, 0x2de8, -v100
	v_add_f16_e32 v38, v41, v38
	v_fma_f16 v36, v109, 0xb461, -v165
	v_add_f16_e64 v119, v185, v119
	v_add_f16_e32 v118, v120, v118
	v_fma_f16 v120, v109, 0x2de8, -v179
	v_add_f16_e32 v34, v40, v34
	v_add_f16_e32 v38, v39, v38
	;; [unrolled: 1-line block ×3, first 2 shown]
	v_fma_f16 v35, v43, 0x3722, -v167
	v_add_f16_e32 v107, v120, v107
	v_fma_f16 v120, v37, 0x3722, -v191
	v_fma_f16 v37, v37, 0xb461, -v98
	v_add_f16_e32 v36, v36, v38
	v_add_f16_e64 v103, v216, v103
	v_add_f16_e64 v119, v188, v119
	v_add_f16_e32 v118, v120, v118
	v_fma_f16 v120, v43, 0x3b76, -v182
	v_add_f16_e32 v34, v37, v34
	v_fma_f16 v37, v109, 0xb8d2, -v97
	v_add_f16_e32 v101, v102, v101
	v_add_f16_e64 v39, v161, v44
	v_add_f16_e32 v107, v120, v107
	v_fma_f16 v120, v109, 0xbacd, -v192
	v_add_f16_e32 v34, v37, v34
	v_fma_f16 v37, v43, 0xbacd, -v96
	v_add_f16_e32 v35, v35, v36
	v_add_f16_e32 v32, v32, v33
	;; [unrolled: 1-line block ×3, first 2 shown]
	v_fma_f16 v120, v29, 0xb8d2, -v187
	v_add_f16_e32 v31, v37, v34
	v_fma_f16 v33, v29, 0xbacd, -v160
	v_fma_f16 v34, v29, 0x3b76, -v168
	v_add_f16_e64 v103, v221, v103
	v_add_f16_e32 v107, v120, v107
	v_fma_f16 v120, v43, 0xb8d2, -v194
	v_add_f16_e64 v119, v193, v119
	v_add_f16_e64 v40, v154, v54
	v_add_f16_e32 v33, v33, v101
	v_add_f16_e64 v36, v166, v39
	v_add_f16_e32 v118, v120, v118
	v_fma_f16 v120, v29, 0x39e9, -v195
	v_fma_f16 v29, v29, 0xbbdd, -v53
	v_add_f16_e32 v34, v34, v35
	v_add_f16_e32 v32, v94, v32
	v_pack_b32_f16 v35, v127, v121
	v_add_f16_e32 v118, v120, v118
	v_add_f16_e32 v29, v29, v31
	v_pack_b32_f16 v31, v95, v51
	v_pack_b32_f16 v37, v105, v103
	;; [unrolled: 1-line block ×8, first 2 shown]
	ds_store_2addr_b32 v48, v35, v31 offset0:8 offset1:9
	ds_store_2addr_b32 v48, v38, v37 offset0:10 offset1:11
	;; [unrolled: 1-line block ×4, first 2 shown]
	ds_store_b32 v48, v29 offset:64
.LBB0_13:
	s_wait_alu 0xfffe
	s_or_b32 exec_lo, exec_lo, s0
	global_wb scope:SCOPE_SE
	s_wait_dscnt 0x0
	s_barrier_signal -1
	s_barrier_wait -1
	global_inv scope:SCOPE_SE
	ds_load_2addr_b32 v[33:34], v50 offset1:51
	ds_load_2addr_b32 v[35:36], v50 offset0:204 offset1:255
	v_add_nc_u32_e32 v31, 0x600, v50
	v_add_nc_u32_e32 v29, 0x400, v50
	;; [unrolled: 1-line block ×3, first 2 shown]
	ds_load_2addr_b32 v[37:38], v50 offset0:102 offset1:153
	ds_load_2addr_b32 v[39:40], v31 offset0:126 offset1:177
	;; [unrolled: 1-line block ×5, first 2 shown]
	ds_load_b32 v51, v50 offset:2856
	global_wb scope:SCOPE_SE
	s_wait_dscnt 0x0
	s_barrier_signal -1
	s_barrier_wait -1
	global_inv scope:SCOPE_SE
	v_lshrrev_b32_e32 v52, 16, v33
	v_lshrrev_b32_e32 v53, 16, v36
	v_lshrrev_b32_e32 v54, 16, v34
	v_lshrrev_b32_e32 v95, 16, v39
	v_lshrrev_b32_e32 v96, 16, v41
	v_lshrrev_b32_e32 v97, 16, v40
	v_mul_f16_e32 v103, v72, v53
	v_mul_f16_e32 v72, v72, v36
	;; [unrolled: 1-line block ×3, first 2 shown]
	v_lshrrev_b32_e32 v98, 16, v42
	v_lshrrev_b32_e32 v99, 16, v43
	v_fmac_f16_e32 v103, v17, v36
	v_mul_f16_e32 v36, v71, v39
	v_fma_f16 v17, v17, v53, -v72
	v_mul_f16_e32 v53, v70, v96
	v_fmac_f16_e32 v106, v18, v39
	v_mul_f16_e32 v39, v70, v41
	v_fma_f16 v18, v18, v95, -v36
	v_mul_f16_e32 v36, v69, v97
	;; [unrolled: 4-line block ×3, first 2 shown]
	v_lshrrev_b32_e32 v100, 16, v48
	v_fmac_f16_e32 v36, v16, v40
	v_mul_f16_e32 v40, v68, v42
	v_fma_f16 v16, v16, v97, -v41
	v_mul_f16_e32 v41, v67, v99
	v_lshrrev_b32_e32 v101, 16, v44
	v_fmac_f16_e32 v39, v13, v42
	v_mul_f16_e32 v42, v67, v43
	v_lshrrev_b32_e32 v104, 16, v49
	v_fma_f16 v13, v13, v98, -v40
	v_mul_f16_e32 v40, v66, v100
	v_fmac_f16_e32 v41, v14, v43
	v_mul_f16_e32 v43, v66, v48
	v_fma_f16 v14, v14, v99, -v42
	v_mul_f16_e32 v42, v65, v101
	v_lshrrev_b32_e32 v105, 16, v51
	v_fmac_f16_e32 v40, v11, v48
	v_mul_f16_e32 v48, v65, v44
	v_fma_f16 v11, v11, v100, -v43
	v_mul_f16_e32 v43, v64, v104
	v_fmac_f16_e32 v42, v12, v44
	v_mul_f16_e32 v44, v64, v49
	v_fma_f16 v12, v12, v101, -v48
	v_mul_f16_e32 v48, v63, v105
	v_fmac_f16_e32 v43, v9, v49
	v_mul_f16_e32 v49, v63, v51
	v_fma_f16 v9, v9, v104, -v44
	v_add_f16_e32 v44, v103, v106
	v_fmac_f16_e32 v48, v10, v51
	v_add_f16_e32 v51, v33, v103
	v_fma_f16 v10, v10, v105, -v49
	v_add_f16_e32 v49, v17, v18
	v_fma_f16 v33, -0.5, v44, v33
	v_sub_f16_e32 v44, v17, v18
	v_add_f16_e32 v17, v52, v17
	v_add_f16_e32 v64, v34, v53
	v_fmac_f16_e32 v52, -0.5, v49
	v_sub_f16_e32 v49, v103, v106
	v_fmamk_f16 v63, v44, 0xbaee, v33
	v_add_f16_e32 v17, v17, v18
	v_add_f16_e32 v18, v53, v36
	v_fmac_f16_e32 v33, 0x3aee, v44
	v_fmamk_f16 v44, v49, 0x3aee, v52
	v_fmac_f16_e32 v52, 0xbaee, v49
	v_add_f16_e32 v49, v15, v16
	v_fmac_f16_e32 v34, -0.5, v18
	v_sub_f16_e32 v18, v15, v16
	v_add_f16_e32 v15, v54, v15
	v_add_f16_e32 v64, v64, v36
	v_fmac_f16_e32 v54, -0.5, v49
	v_sub_f16_e32 v36, v53, v36
	v_lshrrev_b32_e32 v93, 16, v37
	v_add_f16_e32 v15, v15, v16
	v_add_f16_e32 v16, v39, v41
	v_fmamk_f16 v49, v18, 0xbaee, v34
	v_fmac_f16_e32 v34, 0x3aee, v18
	v_fmamk_f16 v18, v36, 0x3aee, v54
	v_fmac_f16_e32 v54, 0xbaee, v36
	v_add_f16_e32 v36, v13, v14
	v_add_f16_e32 v53, v37, v39
	v_fma_f16 v16, -0.5, v16, v37
	v_sub_f16_e32 v37, v13, v14
	v_add_f16_e32 v13, v93, v13
	v_fmac_f16_e32 v93, -0.5, v36
	v_sub_f16_e32 v36, v39, v41
	v_lshrrev_b32_e32 v94, 16, v38
	v_fmamk_f16 v39, v37, 0xbaee, v16
	v_add_f16_e32 v13, v13, v14
	v_add_f16_e32 v14, v40, v42
	v_fmac_f16_e32 v16, 0x3aee, v37
	v_fmamk_f16 v37, v36, 0x3aee, v93
	v_fmac_f16_e32 v93, 0xbaee, v36
	v_add_f16_e32 v36, v11, v12
	v_add_f16_e32 v53, v53, v41
	;; [unrolled: 1-line block ×3, first 2 shown]
	v_fmac_f16_e32 v38, -0.5, v14
	v_sub_f16_e32 v14, v11, v12
	v_add_f16_e32 v11, v94, v11
	v_fmac_f16_e32 v94, -0.5, v36
	v_sub_f16_e32 v36, v40, v42
	v_lshrrev_b32_e32 v102, 16, v35
	v_fmamk_f16 v40, v14, 0xbaee, v38
	v_add_f16_e32 v11, v11, v12
	v_add_f16_e32 v12, v43, v48
	v_fmac_f16_e32 v38, 0x3aee, v14
	v_fmamk_f16 v14, v36, 0x3aee, v94
	v_fmac_f16_e32 v94, 0xbaee, v36
	v_add_f16_e32 v36, v9, v10
	v_add_f16_e32 v51, v51, v106
	;; [unrolled: 1-line block ×4, first 2 shown]
	v_fmac_f16_e32 v35, -0.5, v12
	v_sub_f16_e32 v12, v9, v10
	v_add_f16_e32 v9, v102, v9
	v_fmac_f16_e32 v102, -0.5, v36
	v_sub_f16_e32 v36, v43, v48
	v_pack_b32_f16 v33, v33, v52
	v_fmamk_f16 v43, v12, 0xbaee, v35
	v_fmac_f16_e32 v35, 0x3aee, v12
	v_pack_b32_f16 v12, v51, v17
	v_pack_b32_f16 v17, v63, v44
	;; [unrolled: 1-line block ×4, first 2 shown]
	v_add_f16_e32 v42, v42, v48
	v_add_f16_e32 v9, v9, v10
	v_fmamk_f16 v10, v36, 0x3aee, v102
	v_pack_b32_f16 v34, v34, v54
	v_fmac_f16_e32 v102, 0xbaee, v36
	v_pack_b32_f16 v13, v53, v13
	v_pack_b32_f16 v36, v39, v37
	ds_store_2addr_b32 v59, v12, v17 offset1:17
	ds_store_b32 v59, v33 offset:136
	ds_store_2addr_b32 v61, v15, v18 offset1:17
	ds_store_b32 v61, v34 offset:136
	ds_store_2addr_b32 v58, v13, v36 offset1:17
	v_pack_b32_f16 v12, v16, v93
	v_pack_b32_f16 v11, v41, v11
	;; [unrolled: 1-line block ×7, first 2 shown]
	ds_store_b32 v58, v12 offset:136
	ds_store_2addr_b32 v57, v11, v13 offset1:17
	ds_store_b32 v57, v14 offset:136
	ds_store_2addr_b32 v56, v9, v10 offset1:17
	ds_store_b32 v56, v15 offset:136
	global_wb scope:SCOPE_SE
	s_wait_dscnt 0x0
	s_barrier_signal -1
	s_barrier_wait -1
	global_inv scope:SCOPE_SE
	ds_load_2addr_b32 v[9:10], v50 offset1:51
	ds_load_2addr_b32 v[11:12], v50 offset0:102 offset1:153
	ds_load_2addr_b32 v[13:14], v29 offset0:50 offset1:101
	;; [unrolled: 1-line block ×6, first 2 shown]
	ds_load_b32 v37, v50 offset:2856
	global_wb scope:SCOPE_SE
	s_wait_dscnt 0x0
	s_barrier_signal -1
	s_barrier_wait -1
	global_inv scope:SCOPE_SE
	v_lshrrev_b32_e32 v38, 16, v9
	v_lshrrev_b32_e32 v39, 16, v12
	;; [unrolled: 1-line block ×4, first 2 shown]
	v_mul_f16_e32 v59, v90, v12
	v_lshrrev_b32_e32 v44, 16, v33
	v_mul_f16_e32 v58, v90, v39
	v_lshrrev_b32_e32 v42, 16, v17
	v_lshrrev_b32_e32 v48, 16, v14
	v_mul_f16_e32 v61, v89, v40
	v_mul_f16_e32 v63, v89, v13
	;; [unrolled: 1-line block ×3, first 2 shown]
	v_fmac_f16_e32 v58, v4, v12
	v_fma_f16 v12, v4, v39, -v59
	v_mul_f16_e32 v59, v90, v44
	v_lshrrev_b32_e32 v49, 16, v35
	v_lshrrev_b32_e32 v51, 16, v18
	v_fmac_f16_e32 v61, v5, v13
	v_fma_f16 v13, v5, v40, -v63
	v_fmac_f16_e32 v64, v6, v16
	v_mul_f16_e32 v16, v88, v16
	v_mul_f16_e32 v39, v87, v42
	;; [unrolled: 1-line block ×4, first 2 shown]
	v_fmac_f16_e32 v59, v4, v33
	v_mul_f16_e32 v33, v89, v48
	v_lshrrev_b32_e32 v53, 16, v34
	v_lshrrev_b32_e32 v54, 16, v15
	v_fma_f16 v16, v6, v41, -v16
	v_fmac_f16_e32 v39, v7, v17
	v_fma_f16 v17, v7, v42, -v40
	v_fma_f16 v4, v4, v44, -v63
	v_mul_f16_e32 v40, v89, v14
	v_mul_f16_e32 v41, v88, v49
	;; [unrolled: 1-line block ×4, first 2 shown]
	v_fmac_f16_e32 v33, v5, v14
	v_mul_f16_e32 v14, v87, v18
	v_lshrrev_b32_e32 v56, 16, v36
	v_fma_f16 v5, v5, v48, -v40
	v_fmac_f16_e32 v41, v6, v35
	v_fma_f16 v6, v6, v49, -v42
	v_fmac_f16_e32 v44, v7, v18
	v_mul_f16_e32 v18, v86, v53
	v_mul_f16_e32 v40, v85, v54
	;; [unrolled: 1-line block ×3, first 2 shown]
	v_fma_f16 v7, v7, v51, -v14
	v_add_f16_e32 v14, v61, v64
	v_lshrrev_b32_e32 v57, 16, v37
	v_mul_f16_e32 v35, v86, v34
	v_fmac_f16_e32 v18, v0, v34
	v_fmac_f16_e32 v40, v1, v15
	v_fma_f16 v1, v1, v54, -v42
	v_mul_f16_e32 v15, v83, v56
	v_mul_f16_e32 v34, v83, v36
	v_add_f16_e32 v42, v9, v58
	v_fma_f16 v14, -0.5, v14, v9
	v_sub_f16_e32 v48, v12, v17
	v_fma_f16 v0, v0, v53, -v35
	v_mul_f16_e32 v35, v78, v57
	v_fmac_f16_e32 v15, v2, v36
	v_fma_f16 v2, v2, v56, -v34
	v_add_f16_e32 v34, v42, v61
	v_fmamk_f16 v36, v48, 0xbb9c, v14
	v_sub_f16_e32 v42, v13, v16
	v_sub_f16_e32 v49, v58, v61
	;; [unrolled: 1-line block ×3, first 2 shown]
	v_add_f16_e32 v53, v58, v39
	v_fmac_f16_e32 v14, 0x3b9c, v48
	v_fmac_f16_e32 v35, v3, v37
	v_mul_f16_e32 v37, v78, v37
	v_add_f16_e32 v34, v34, v64
	v_fmac_f16_e32 v36, 0xb8b4, v42
	v_add_f16_e32 v49, v49, v51
	v_fma_f16 v9, -0.5, v53, v9
	v_sub_f16_e32 v51, v61, v58
	v_sub_f16_e32 v53, v64, v39
	v_fmac_f16_e32 v14, 0x38b4, v42
	v_add_f16_e32 v54, v38, v12
	v_add_f16_e32 v56, v13, v16
	v_fma_f16 v3, v3, v57, -v37
	v_add_f16_e32 v34, v34, v39
	v_fmac_f16_e32 v36, 0x34f2, v49
	v_fmamk_f16 v37, v42, 0x3b9c, v9
	v_add_f16_e32 v51, v51, v53
	v_fmac_f16_e32 v9, 0xbb9c, v42
	v_add_f16_e32 v42, v54, v13
	v_fma_f16 v53, -0.5, v56, v38
	v_sub_f16_e32 v39, v58, v39
	v_fmac_f16_e32 v14, 0x34f2, v49
	v_add_f16_e32 v49, v12, v17
	v_sub_f16_e32 v56, v12, v13
	v_sub_f16_e32 v12, v13, v12
	;; [unrolled: 1-line block ×3, first 2 shown]
	v_fmac_f16_e32 v37, 0xb8b4, v48
	v_fmac_f16_e32 v9, 0x38b4, v48
	v_add_f16_e32 v42, v42, v16
	v_fmamk_f16 v48, v39, 0x3b9c, v53
	v_sub_f16_e32 v54, v61, v64
	v_sub_f16_e32 v57, v17, v16
	v_fmac_f16_e32 v38, -0.5, v49
	v_fmac_f16_e32 v53, 0xbb9c, v39
	v_add_f16_e32 v16, v33, v41
	v_add_f16_e32 v12, v12, v13
	;; [unrolled: 1-line block ×3, first 2 shown]
	v_lshrrev_b32_e32 v43, 16, v10
	v_fmac_f16_e32 v37, 0x34f2, v51
	v_fmac_f16_e32 v9, 0x34f2, v51
	v_add_f16_e32 v42, v42, v17
	v_fmac_f16_e32 v48, 0x38b4, v54
	v_add_f16_e32 v49, v56, v57
	v_fmamk_f16 v51, v54, 0xbb9c, v38
	v_fmac_f16_e32 v53, 0xb8b4, v54
	v_fma_f16 v16, -0.5, v16, v10
	v_sub_f16_e32 v17, v4, v7
	v_fmac_f16_e32 v38, 0x3b9c, v54
	v_add_f16_e32 v13, v13, v33
	v_add_f16_e32 v58, v59, v44
	v_fmac_f16_e32 v48, 0x34f2, v49
	v_fmac_f16_e32 v51, 0x38b4, v39
	v_fmac_f16_e32 v53, 0x34f2, v49
	v_fmamk_f16 v49, v17, 0xbb9c, v16
	v_sub_f16_e32 v54, v5, v6
	v_sub_f16_e32 v56, v59, v33
	;; [unrolled: 1-line block ×3, first 2 shown]
	v_fmac_f16_e32 v38, 0xb8b4, v39
	v_add_f16_e32 v13, v13, v41
	v_fmac_f16_e32 v10, -0.5, v58
	v_fmac_f16_e32 v16, 0x3b9c, v17
	v_add_f16_e32 v58, v43, v4
	v_fmac_f16_e32 v51, 0x34f2, v12
	v_fmac_f16_e32 v49, 0xb8b4, v54
	v_add_f16_e32 v39, v56, v57
	v_fmac_f16_e32 v38, 0x34f2, v12
	v_add_f16_e32 v12, v13, v44
	v_fmamk_f16 v13, v54, 0x3b9c, v10
	v_sub_f16_e32 v56, v33, v59
	v_sub_f16_e32 v57, v41, v44
	v_fmac_f16_e32 v16, 0x38b4, v54
	v_add_f16_e32 v61, v5, v6
	v_fmac_f16_e32 v10, 0xbb9c, v54
	v_add_f16_e32 v54, v58, v5
	;; [unrolled: 2-line block ×3, first 2 shown]
	v_fma_f16 v57, -0.5, v61, v43
	v_sub_f16_e32 v44, v59, v44
	v_fmac_f16_e32 v10, 0x38b4, v17
	v_add_f16_e32 v17, v54, v6
	v_add_f16_e32 v54, v4, v7
	v_fmac_f16_e32 v49, 0x34f2, v39
	v_fmac_f16_e32 v16, 0x34f2, v39
	v_fmamk_f16 v39, v44, 0x3b9c, v57
	v_sub_f16_e32 v33, v33, v41
	v_sub_f16_e32 v41, v4, v5
	v_sub_f16_e32 v58, v7, v6
	v_fmac_f16_e32 v43, -0.5, v54
	v_fmac_f16_e32 v57, 0xbb9c, v44
	v_sub_f16_e32 v4, v5, v4
	v_sub_f16_e32 v5, v6, v7
	v_add_f16_e32 v6, v40, v15
	v_add_f16_e32 v17, v17, v7
	v_fmac_f16_e32 v39, 0x38b4, v33
	v_add_f16_e32 v41, v41, v58
	v_fmamk_f16 v54, v33, 0xbb9c, v43
	v_fmac_f16_e32 v57, 0xb8b4, v33
	v_add_f16_e32 v4, v4, v5
	v_fmac_f16_e32 v43, 0x3b9c, v33
	v_add_f16_e32 v5, v11, v18
	v_fma_f16 v6, -0.5, v6, v11
	v_sub_f16_e32 v7, v0, v3
	v_fmac_f16_e32 v13, 0x34f2, v56
	v_fmac_f16_e32 v10, 0x34f2, v56
	;; [unrolled: 1-line block ×6, first 2 shown]
	v_add_f16_e32 v5, v5, v40
	v_fmamk_f16 v33, v7, 0xbb9c, v6
	v_sub_f16_e32 v41, v1, v2
	v_sub_f16_e32 v44, v18, v40
	;; [unrolled: 1-line block ×3, first 2 shown]
	v_fmac_f16_e32 v6, 0x3b9c, v7
	v_add_f16_e32 v58, v18, v35
	v_lshrrev_b32_e32 v52, 16, v11
	v_add_f16_e32 v5, v5, v15
	v_fmac_f16_e32 v33, 0xb8b4, v41
	v_add_f16_e32 v44, v44, v56
	v_fmac_f16_e32 v6, 0x38b4, v41
	v_fmac_f16_e32 v11, -0.5, v58
	v_sub_f16_e32 v56, v40, v18
	v_sub_f16_e32 v58, v15, v35
	v_fmac_f16_e32 v54, 0x34f2, v4
	v_fmac_f16_e32 v43, 0x34f2, v4
	v_add_f16_e32 v4, v5, v35
	v_fmac_f16_e32 v33, 0x34f2, v44
	v_fmac_f16_e32 v6, 0x34f2, v44
	v_fmamk_f16 v5, v41, 0x3b9c, v11
	v_add_f16_e32 v44, v1, v2
	v_fmac_f16_e32 v11, 0xbb9c, v41
	v_sub_f16_e32 v18, v18, v35
	v_add_f16_e32 v35, v56, v58
	v_add_f16_e32 v56, v0, v3
	;; [unrolled: 1-line block ×3, first 2 shown]
	v_fma_f16 v44, -0.5, v44, v52
	v_fmac_f16_e32 v5, 0xb8b4, v7
	v_fmac_f16_e32 v11, 0x38b4, v7
	v_sub_f16_e32 v15, v40, v15
	v_fmac_f16_e32 v52, -0.5, v56
	v_add_f16_e32 v7, v41, v1
	v_fmamk_f16 v41, v18, 0x3b9c, v44
	v_fmac_f16_e32 v5, 0x34f2, v35
	v_fmac_f16_e32 v11, 0x34f2, v35
	v_sub_f16_e32 v35, v0, v1
	v_sub_f16_e32 v40, v3, v2
	v_fmac_f16_e32 v44, 0xbb9c, v18
	v_fmamk_f16 v56, v15, 0xbb9c, v52
	v_sub_f16_e32 v0, v1, v0
	v_sub_f16_e32 v1, v2, v3
	v_fmac_f16_e32 v52, 0x3b9c, v15
	v_add_f16_e32 v7, v7, v2
	v_fmac_f16_e32 v41, 0x38b4, v15
	v_add_f16_e32 v2, v35, v40
	v_fmac_f16_e32 v44, 0xb8b4, v15
	v_fmac_f16_e32 v56, 0x38b4, v18
	v_add_f16_e32 v0, v0, v1
	v_fmac_f16_e32 v52, 0xb8b4, v18
	v_fmac_f16_e32 v41, 0x34f2, v2
	;; [unrolled: 1-line block ×3, first 2 shown]
	v_pack_b32_f16 v2, v36, v48
	v_fmac_f16_e32 v56, 0x34f2, v0
	v_fmac_f16_e32 v52, 0x34f2, v0
	v_pack_b32_f16 v0, v34, v42
	v_add_f16_e32 v1, v7, v3
	v_pack_b32_f16 v3, v37, v51
	v_pack_b32_f16 v7, v9, v38
	v_pack_b32_f16 v9, v14, v53
	v_pack_b32_f16 v12, v12, v17
	ds_store_2addr_b32 v50, v0, v2 offset1:51
	ds_store_2addr_b32 v50, v3, v7 offset0:102 offset1:153
	ds_store_2addr_b32 v50, v9, v12 offset0:204 offset1:255
	v_pack_b32_f16 v0, v49, v39
	v_pack_b32_f16 v2, v13, v54
	;; [unrolled: 1-line block ×6, first 2 shown]
	v_add_nc_u32_e32 v9, 0x600, v60
	v_pack_b32_f16 v5, v5, v56
	v_pack_b32_f16 v10, v11, v52
	v_add_nc_u32_e32 v11, 0x800, v60
	v_pack_b32_f16 v6, v6, v44
	ds_store_2addr_b32 v29, v0, v2 offset0:50 offset1:101
	ds_store_2addr_b32 v29, v3, v7 offset0:152 offset1:203
	;; [unrolled: 1-line block ×4, first 2 shown]
	ds_store_b32 v60, v6 offset:2856
	global_wb scope:SCOPE_SE
	s_wait_dscnt 0x0
	s_barrier_signal -1
	s_barrier_wait -1
	global_inv scope:SCOPE_SE
	ds_load_2addr_b32 v[0:1], v50 offset1:51
	ds_load_2addr_b32 v[2:3], v50 offset0:204 offset1:255
	ds_load_2addr_b32 v[4:5], v31 offset0:126 offset1:177
	;; [unrolled: 1-line block ×6, first 2 shown]
	ds_load_b32 v15, v50 offset:2856
	s_wait_dscnt 0x7
	v_lshrrev_b32_e32 v16, 16, v0
	s_wait_dscnt 0x6
	v_lshrrev_b32_e32 v17, 16, v3
	;; [unrolled: 2-line block ×4, first 2 shown]
	v_mul_f16_e32 v42, v84, v3
	v_lshrrev_b32_e32 v32, 16, v5
	v_mul_f16_e32 v40, v84, v17
	v_mul_f16_e32 v44, v82, v18
	v_lshrrev_b32_e32 v34, 16, v7
	s_wait_dscnt 0x2
	v_lshrrev_b32_e32 v35, 16, v11
	v_fma_f16 v17, v23, v17, -v42
	v_fmac_f16_e32 v40, v23, v3
	v_mul_f16_e32 v3, v82, v4
	v_mul_f16_e32 v23, v81, v31
	v_fmac_f16_e32 v44, v24, v4
	v_mul_f16_e32 v4, v81, v6
	s_wait_dscnt 0x1
	v_lshrrev_b32_e32 v37, 16, v13
	v_fma_f16 v3, v24, v18, -v3
	v_mul_f16_e32 v18, v80, v32
	v_fmac_f16_e32 v23, v25, v6
	v_mul_f16_e32 v6, v80, v5
	v_fma_f16 v4, v25, v31, -v4
	v_mul_f16_e32 v24, v79, v34
	v_mul_f16_e32 v25, v77, v35
	v_lshrrev_b32_e32 v38, 16, v12
	v_fmac_f16_e32 v18, v26, v5
	v_mul_f16_e32 v5, v79, v7
	v_lshrrev_b32_e32 v41, 16, v14
	v_fma_f16 v6, v26, v32, -v6
	v_fmac_f16_e32 v24, v27, v7
	v_mul_f16_e32 v7, v77, v11
	v_mul_f16_e32 v26, v76, v37
	v_fmac_f16_e32 v25, v28, v11
	v_mul_f16_e32 v11, v76, v13
	v_fma_f16 v5, v27, v34, -v5
	v_mul_f16_e32 v27, v75, v38
	s_wait_dscnt 0x0
	v_lshrrev_b32_e32 v43, 16, v15
	v_fmac_f16_e32 v26, v21, v13
	v_mul_f16_e32 v13, v75, v12
	v_fma_f16 v11, v21, v37, -v11
	v_mul_f16_e32 v21, v74, v41
	v_fmac_f16_e32 v27, v22, v12
	v_mul_f16_e32 v12, v74, v14
	v_fma_f16 v13, v22, v38, -v13
	v_mul_f16_e32 v22, v73, v43
	v_fmac_f16_e32 v21, v19, v14
	v_mul_f16_e32 v14, v73, v15
	v_fma_f16 v12, v19, v41, -v12
	v_add_f16_e32 v19, v40, v44
	v_fmac_f16_e32 v22, v20, v15
	v_add_f16_e32 v15, v0, v40
	v_fma_f16 v14, v20, v43, -v14
	v_add_f16_e32 v20, v17, v3
	v_fma_f16 v0, -0.5, v19, v0
	v_sub_f16_e32 v19, v17, v3
	v_add_f16_e32 v17, v16, v17
	v_lshrrev_b32_e32 v29, 16, v1
	v_fmac_f16_e32 v16, -0.5, v20
	v_sub_f16_e32 v20, v40, v44
	v_fma_f16 v7, v28, v35, -v7
	v_add_f16_e32 v3, v17, v3
	v_add_f16_e32 v17, v23, v18
	v_fmamk_f16 v28, v19, 0xbaee, v0
	v_fmac_f16_e32 v0, 0x3aee, v19
	v_fmamk_f16 v19, v20, 0x3aee, v16
	v_add_f16_e32 v31, v1, v23
	v_fmac_f16_e32 v16, 0xbaee, v20
	v_add_f16_e32 v20, v4, v6
	v_fmac_f16_e32 v1, -0.5, v17
	v_sub_f16_e32 v17, v4, v6
	v_add_f16_e32 v4, v29, v4
	v_add_f16_e32 v31, v31, v18
	v_fmac_f16_e32 v29, -0.5, v20
	v_sub_f16_e32 v18, v23, v18
	v_lshrrev_b32_e32 v33, 16, v9
	v_add_f16_e32 v4, v4, v6
	v_add_f16_e32 v6, v24, v25
	v_fmamk_f16 v20, v17, 0xbaee, v1
	v_fmac_f16_e32 v1, 0x3aee, v17
	v_fmamk_f16 v17, v18, 0x3aee, v29
	v_fmac_f16_e32 v29, 0xbaee, v18
	v_add_f16_e32 v18, v5, v7
	v_add_f16_e32 v23, v9, v24
	v_fma_f16 v6, -0.5, v6, v9
	v_sub_f16_e32 v9, v5, v7
	v_add_f16_e32 v5, v33, v5
	v_fmac_f16_e32 v33, -0.5, v18
	v_sub_f16_e32 v18, v24, v25
	v_lshrrev_b32_e32 v36, 16, v10
	v_fmamk_f16 v24, v9, 0xbaee, v6
	v_add_f16_e32 v5, v5, v7
	v_add_f16_e32 v7, v26, v27
	v_fmac_f16_e32 v6, 0x3aee, v9
	v_fmamk_f16 v9, v18, 0x3aee, v33
	v_fmac_f16_e32 v33, 0xbaee, v18
	v_add_f16_e32 v18, v11, v13
	v_add_f16_e32 v23, v23, v25
	;; [unrolled: 1-line block ×3, first 2 shown]
	v_fmac_f16_e32 v10, -0.5, v7
	v_sub_f16_e32 v7, v11, v13
	v_add_f16_e32 v11, v36, v11
	v_fmac_f16_e32 v36, -0.5, v18
	v_sub_f16_e32 v18, v26, v27
	v_lshrrev_b32_e32 v39, 16, v2
	v_fmamk_f16 v26, v7, 0xbaee, v10
	v_fmac_f16_e32 v10, 0x3aee, v7
	v_add_f16_e32 v7, v11, v13
	v_add_f16_e32 v11, v21, v22
	v_fmamk_f16 v13, v18, 0x3aee, v36
	v_fmac_f16_e32 v36, 0xbaee, v18
	v_add_f16_e32 v18, v12, v14
	v_add_f16_e32 v15, v15, v44
	;; [unrolled: 1-line block ×4, first 2 shown]
	v_fmac_f16_e32 v2, -0.5, v11
	v_sub_f16_e32 v11, v12, v14
	v_add_f16_e32 v12, v39, v12
	v_fmac_f16_e32 v39, -0.5, v18
	v_sub_f16_e32 v18, v21, v22
	v_pack_b32_f16 v3, v15, v3
	v_pack_b32_f16 v4, v31, v4
	v_add_f16_e32 v21, v27, v22
	v_fmamk_f16 v22, v11, 0xbaee, v2
	v_fmac_f16_e32 v2, 0x3aee, v11
	v_add_f16_e32 v11, v12, v14
	v_pack_b32_f16 v14, v28, v19
	v_pack_b32_f16 v0, v0, v16
	;; [unrolled: 1-line block ×3, first 2 shown]
	v_add_nc_u32_e32 v16, 0x200, v62
	v_pack_b32_f16 v1, v1, v29
	v_add_nc_u32_e32 v17, 0x600, v62
	v_pack_b32_f16 v5, v23, v5
	v_fmamk_f16 v12, v18, 0x3aee, v39
	v_fmac_f16_e32 v39, 0xbaee, v18
	ds_store_2addr_b32 v62, v3, v4 offset1:51
	ds_store_2addr_b32 v16, v14, v15 offset0:127 offset1:178
	ds_store_2addr_b32 v17, v0, v1 offset0:126 offset1:177
	ds_store_b32 v62, v5 offset:408
	v_pack_b32_f16 v0, v24, v9
	v_pack_b32_f16 v1, v6, v33
	v_add_nc_u32_e32 v3, 0x3fc, v92
	v_pack_b32_f16 v4, v25, v7
	v_pack_b32_f16 v5, v26, v13
	;; [unrolled: 1-line block ×3, first 2 shown]
	v_add_nc_u32_e32 v7, 0x3fc, v91
	v_pack_b32_f16 v9, v21, v11
	v_pack_b32_f16 v10, v22, v12
	;; [unrolled: 1-line block ×3, first 2 shown]
	v_add_nc_u32_e32 v11, 0x3fc, v30
	ds_store_2addr_b32 v3, v0, v1 offset1:255
	ds_store_b32 v62, v4 offset:612
	ds_store_2addr_b32 v7, v5, v6 offset1:255
	ds_store_b32 v62, v9 offset:816
	ds_store_2addr_b32 v11, v10, v2 offset1:255
	global_wb scope:SCOPE_SE
	s_wait_dscnt 0x0
	s_barrier_signal -1
	s_barrier_wait -1
	global_inv scope:SCOPE_SE
	s_and_b32 exec_lo, exec_lo, vcc_lo
	s_cbranch_execz .LBB0_15
; %bb.14:
	global_load_b32 v0, v45, s[8:9]
	ds_load_b32 v1, v62
	s_mov_b32 s10, 0x156ac015
	s_mov_b32 s11, 0x3f556ac0
	v_mad_co_u64_u32 v[6:7], null, s4, v47, 0
	s_wait_dscnt 0x0
	v_lshrrev_b32_e32 v2, 16, v1
	s_wait_loadcnt 0x0
	v_lshrrev_b32_e32 v3, 16, v0
	s_delay_alu instid0(VALU_DEP_1) | instskip(SKIP_1) | instid1(VALU_DEP_2)
	v_mul_f16_e32 v4, v2, v3
	v_mul_f16_e32 v3, v1, v3
	v_fmac_f16_e32 v4, v1, v0
	s_delay_alu instid0(VALU_DEP_2) | instskip(NEXT) | instid1(VALU_DEP_2)
	v_fma_f16 v0, v0, v2, -v3
	v_cvt_f32_f16_e32 v1, v4
	s_delay_alu instid0(VALU_DEP_2) | instskip(SKIP_1) | instid1(VALU_DEP_3)
	v_cvt_f32_f16_e32 v2, v0
	v_mad_co_u64_u32 v[4:5], null, s6, v8, 0
	v_cvt_f64_f32_e32 v[0:1], v1
	s_delay_alu instid0(VALU_DEP_3) | instskip(SKIP_1) | instid1(VALU_DEP_2)
	v_cvt_f64_f32_e32 v[2:3], v2
	s_wait_alu 0xfffe
	v_mul_f64_e32 v[0:1], s[10:11], v[0:1]
	s_delay_alu instid0(VALU_DEP_2) | instskip(NEXT) | instid1(VALU_DEP_2)
	v_mul_f64_e32 v[2:3], s[10:11], v[2:3]
	v_and_or_b32 v0, 0x1ff, v1, v0
	s_delay_alu instid0(VALU_DEP_2)
	v_and_or_b32 v2, 0x1ff, v3, v2
	v_lshrrev_b32_e32 v9, 8, v1
	v_bfe_u32 v10, v1, 20, 11
	v_bfe_u32 v12, v3, 20, 11
	v_cmp_ne_u32_e32 vcc_lo, 0, v0
	v_lshrrev_b32_e32 v11, 8, v3
	v_mov_b32_e32 v0, v7
	v_sub_nc_u32_e32 v14, 0x3f1, v10
	v_sub_nc_u32_e32 v15, 0x3f1, v12
	v_cndmask_b32_e64 v13, 0, 1, vcc_lo
	v_cmp_ne_u32_e32 vcc_lo, 0, v2
	v_mad_co_u64_u32 v[7:8], null, s7, v8, v[5:6]
	v_add_nc_u32_e32 v12, 0xfffffc10, v12
	s_delay_alu instid0(VALU_DEP_4) | instskip(SKIP_4) | instid1(VALU_DEP_3)
	v_and_or_b32 v13, 0xffe, v9, v13
	s_wait_alu 0xfffd
	v_cndmask_b32_e64 v2, 0, 1, vcc_lo
	v_lshrrev_b32_e32 v3, 16, v3
	v_mov_b32_e32 v5, v7
	v_and_or_b32 v2, 0xffe, v11, v2
	v_med3_i32 v11, v14, 0, 13
	v_med3_i32 v14, v15, 0, 13
	v_or_b32_e32 v15, 0x1000, v13
	v_mad_co_u64_u32 v[8:9], null, s5, v47, v[0:1]
	v_or_b32_e32 v16, 0x1000, v2
	v_lshlrev_b64_e32 v[4:5], 2, v[4:5]
	s_delay_alu instid0(VALU_DEP_4) | instskip(SKIP_1) | instid1(VALU_DEP_3)
	v_lshrrev_b32_e32 v0, v11, v15
	s_mul_u64 s[4:5], s[4:5], 0xb4
	v_lshrrev_b32_e32 v9, v14, v16
	v_mov_b32_e32 v7, v8
	s_delay_alu instid0(VALU_DEP_3) | instskip(NEXT) | instid1(VALU_DEP_3)
	v_lshlrev_b32_e32 v11, v11, v0
	v_lshlrev_b32_e32 v8, v14, v9
	s_delay_alu instid0(VALU_DEP_2) | instskip(SKIP_2) | instid1(VALU_DEP_3)
	v_cmp_ne_u32_e32 vcc_lo, v11, v15
	s_wait_alu 0xfffd
	v_cndmask_b32_e64 v11, 0, 1, vcc_lo
	v_cmp_ne_u32_e32 vcc_lo, v8, v16
	s_delay_alu instid0(VALU_DEP_2) | instskip(SKIP_3) | instid1(VALU_DEP_2)
	v_or_b32_e32 v0, v0, v11
	s_wait_alu 0xfffd
	v_cndmask_b32_e64 v8, 0, 1, vcc_lo
	v_lshl_or_b32 v11, v12, 12, v2
	v_or_b32_e32 v8, v9, v8
	v_add_nc_u32_e32 v10, 0xfffffc10, v10
	v_lshrrev_b32_e32 v9, 16, v1
	s_delay_alu instid0(VALU_DEP_2) | instskip(SKIP_2) | instid1(VALU_DEP_2)
	v_lshl_or_b32 v14, v10, 12, v13
	v_cmp_gt_i32_e32 vcc_lo, 1, v10
	s_wait_alu 0xfffd
	v_cndmask_b32_e32 v0, v14, v0, vcc_lo
	v_cmp_gt_i32_e32 vcc_lo, 1, v12
	s_wait_alu 0xfffd
	v_cndmask_b32_e32 v1, v11, v8, vcc_lo
	v_cmp_ne_u32_e32 vcc_lo, 0, v13
	s_delay_alu instid0(VALU_DEP_2)
	v_and_b32_e32 v13, 7, v1
	s_wait_alu 0xfffd
	v_cndmask_b32_e64 v8, 0, 1, vcc_lo
	v_and_b32_e32 v11, 7, v0
	v_cmp_ne_u32_e32 vcc_lo, 0, v2
	v_lshrrev_b32_e32 v0, 2, v0
	v_cmp_lt_i32_e64 s1, 5, v13
	v_cmp_eq_u32_e64 s2, 3, v13
	v_cmp_eq_u32_e64 s0, 3, v11
	s_wait_alu 0xfffd
	v_cndmask_b32_e64 v2, 0, 1, vcc_lo
	v_cmp_lt_i32_e32 vcc_lo, 5, v11
	v_lshrrev_b32_e32 v1, 2, v1
	v_lshl_or_b32 v8, v8, 9, 0x7c00
	s_delay_alu instid0(VALU_DEP_4)
	v_lshl_or_b32 v2, v2, 9, 0x7c00
	s_or_b32 vcc_lo, s0, vcc_lo
	s_wait_alu 0xfffe
	v_add_co_ci_u32_e32 v0, vcc_lo, 0, v0, vcc_lo
	s_or_b32 vcc_lo, s2, s1
	s_wait_alu 0xfffe
	v_add_co_ci_u32_e32 v1, vcc_lo, 0, v1, vcc_lo
	v_cmp_gt_i32_e32 vcc_lo, 31, v10
	s_wait_alu 0xfffd
	v_cndmask_b32_e32 v0, 0x7c00, v0, vcc_lo
	v_cmp_gt_i32_e32 vcc_lo, 31, v12
	s_wait_alu 0xfffd
	v_cndmask_b32_e32 v11, 0x7c00, v1, vcc_lo
	v_cmp_eq_u32_e32 vcc_lo, 0x40f, v10
	s_wait_alu 0xfffd
	v_cndmask_b32_e32 v8, v0, v8, vcc_lo
	v_cmp_eq_u32_e32 vcc_lo, 0x40f, v12
	v_lshlrev_b64_e32 v[0:1], 2, v[6:7]
	s_delay_alu instid0(VALU_DEP_3)
	v_and_or_b32 v6, 0x8000, v9, v8
	s_wait_alu 0xfffd
	v_cndmask_b32_e32 v2, v11, v2, vcc_lo
	v_add_co_u32 v4, vcc_lo, s12, v4
	s_wait_alu 0xfffd
	v_add_co_ci_u32_e32 v5, vcc_lo, s13, v5, vcc_lo
	s_delay_alu instid0(VALU_DEP_3) | instskip(SKIP_4) | instid1(VALU_DEP_3)
	v_and_or_b32 v7, 0x8000, v3, v2
	v_and_b32_e32 v6, 0xffff, v6
	v_add_co_u32 v2, vcc_lo, v4, v0
	s_wait_alu 0xfffd
	v_add_co_ci_u32_e32 v3, vcc_lo, v5, v1, vcc_lo
	v_lshl_or_b32 v0, v7, 16, v6
	global_store_b32 v[2:3], v0, off
	global_load_b32 v1, v45, s[8:9] offset:180
	v_lshl_add_u32 v0, v46, 2, v55
	ds_load_2addr_b32 v[4:5], v0 offset0:45 offset1:90
	s_wait_dscnt 0x0
	v_lshrrev_b32_e32 v6, 16, v4
	s_wait_loadcnt 0x0
	v_lshrrev_b32_e32 v7, 16, v1
	s_delay_alu instid0(VALU_DEP_1) | instskip(SKIP_1) | instid1(VALU_DEP_2)
	v_mul_f16_e32 v8, v6, v7
	v_mul_f16_e32 v7, v4, v7
	v_fmac_f16_e32 v8, v4, v1
	s_delay_alu instid0(VALU_DEP_2) | instskip(NEXT) | instid1(VALU_DEP_2)
	v_fma_f16 v1, v1, v6, -v7
	v_cvt_f32_f16_e32 v4, v8
	s_delay_alu instid0(VALU_DEP_2) | instskip(NEXT) | instid1(VALU_DEP_2)
	v_cvt_f32_f16_e32 v1, v1
	v_cvt_f64_f32_e32 v[6:7], v4
	s_delay_alu instid0(VALU_DEP_2) | instskip(NEXT) | instid1(VALU_DEP_2)
	v_cvt_f64_f32_e32 v[8:9], v1
	v_mul_f64_e32 v[6:7], s[10:11], v[6:7]
	s_delay_alu instid0(VALU_DEP_2) | instskip(NEXT) | instid1(VALU_DEP_2)
	v_mul_f64_e32 v[8:9], s[10:11], v[8:9]
	v_and_or_b32 v1, 0x1ff, v7, v6
	s_delay_alu instid0(VALU_DEP_2)
	v_and_or_b32 v8, 0x1ff, v9, v8
	v_lshrrev_b32_e32 v4, 8, v7
	v_bfe_u32 v6, v7, 20, 11
	v_lshrrev_b32_e32 v10, 8, v9
	v_cmp_ne_u32_e32 vcc_lo, 0, v1
	v_bfe_u32 v11, v9, 20, 11
	v_lshrrev_b32_e32 v7, 16, v7
	v_sub_nc_u32_e32 v12, 0x3f1, v6
	v_add_nc_u32_e32 v6, 0xfffffc10, v6
	s_wait_alu 0xfffd
	v_cndmask_b32_e64 v1, 0, 1, vcc_lo
	v_cmp_ne_u32_e32 vcc_lo, 0, v8
	s_delay_alu instid0(VALU_DEP_2) | instskip(SKIP_4) | instid1(VALU_DEP_3)
	v_and_or_b32 v1, 0xffe, v4, v1
	s_wait_alu 0xfffd
	v_cndmask_b32_e64 v8, 0, 1, vcc_lo
	v_sub_nc_u32_e32 v4, 0x3f1, v11
	v_add_nc_u32_e32 v11, 0xfffffc10, v11
	v_and_or_b32 v8, 0xffe, v10, v8
	v_med3_i32 v10, v12, 0, 13
	v_or_b32_e32 v12, 0x1000, v1
	v_med3_i32 v4, v4, 0, 13
	s_delay_alu instid0(VALU_DEP_4) | instskip(NEXT) | instid1(VALU_DEP_3)
	v_or_b32_e32 v13, 0x1000, v8
	v_lshrrev_b32_e32 v14, v10, v12
	s_delay_alu instid0(VALU_DEP_2) | instskip(NEXT) | instid1(VALU_DEP_2)
	v_lshrrev_b32_e32 v15, v4, v13
	v_lshlrev_b32_e32 v10, v10, v14
	s_delay_alu instid0(VALU_DEP_2) | instskip(NEXT) | instid1(VALU_DEP_2)
	v_lshlrev_b32_e32 v4, v4, v15
	v_cmp_ne_u32_e32 vcc_lo, v10, v12
	v_lshl_or_b32 v12, v6, 12, v1
	s_wait_alu 0xfffd
	v_cndmask_b32_e64 v10, 0, 1, vcc_lo
	v_cmp_ne_u32_e32 vcc_lo, v4, v13
	v_lshl_or_b32 v13, v11, 12, v8
	s_delay_alu instid0(VALU_DEP_3) | instskip(SKIP_3) | instid1(VALU_DEP_2)
	v_or_b32_e32 v10, v14, v10
	s_wait_alu 0xfffd
	v_cndmask_b32_e64 v4, 0, 1, vcc_lo
	v_cmp_gt_i32_e32 vcc_lo, 1, v6
	v_or_b32_e32 v4, v15, v4
	s_wait_alu 0xfffd
	v_cndmask_b32_e32 v10, v12, v10, vcc_lo
	v_cmp_gt_i32_e32 vcc_lo, 1, v11
	s_delay_alu instid0(VALU_DEP_2)
	v_and_b32_e32 v12, 7, v10
	s_wait_alu 0xfffd
	v_cndmask_b32_e32 v4, v13, v4, vcc_lo
	v_cmp_ne_u32_e32 vcc_lo, 0, v1
	v_lshrrev_b32_e32 v10, 2, v10
	v_cmp_eq_u32_e64 s0, 3, v12
	s_delay_alu instid0(VALU_DEP_4)
	v_and_b32_e32 v13, 7, v4
	s_wait_alu 0xfffd
	v_cndmask_b32_e64 v1, 0, 1, vcc_lo
	v_cmp_ne_u32_e32 vcc_lo, 0, v8
	v_lshrrev_b32_e32 v4, 2, v4
	v_cmp_lt_i32_e64 s1, 5, v13
	v_cmp_eq_u32_e64 s2, 3, v13
	s_wait_alu 0xfffd
	v_cndmask_b32_e64 v8, 0, 1, vcc_lo
	v_cmp_lt_i32_e32 vcc_lo, 5, v12
	v_lshl_or_b32 v1, v1, 9, 0x7c00
	s_delay_alu instid0(VALU_DEP_3)
	v_lshl_or_b32 v8, v8, 9, 0x7c00
	s_or_b32 vcc_lo, s0, vcc_lo
	s_wait_alu 0xfffe
	v_add_co_ci_u32_e32 v10, vcc_lo, 0, v10, vcc_lo
	s_or_b32 vcc_lo, s2, s1
	s_wait_alu 0xfffe
	v_add_co_ci_u32_e32 v4, vcc_lo, 0, v4, vcc_lo
	v_cmp_gt_i32_e32 vcc_lo, 31, v6
	s_wait_alu 0xfffd
	v_cndmask_b32_e32 v10, 0x7c00, v10, vcc_lo
	v_cmp_gt_i32_e32 vcc_lo, 31, v11
	s_wait_alu 0xfffd
	v_cndmask_b32_e32 v4, 0x7c00, v4, vcc_lo
	v_cmp_eq_u32_e32 vcc_lo, 0x40f, v6
	v_lshrrev_b32_e32 v6, 16, v9
	s_wait_alu 0xfffd
	v_cndmask_b32_e32 v1, v10, v1, vcc_lo
	v_cmp_eq_u32_e32 vcc_lo, 0x40f, v11
	s_delay_alu instid0(VALU_DEP_2) | instskip(SKIP_2) | instid1(VALU_DEP_1)
	v_and_or_b32 v1, 0x8000, v7, v1
	s_wait_alu 0xfffd
	v_cndmask_b32_e32 v4, v4, v8, vcc_lo
	v_and_or_b32 v4, 0x8000, v6, v4
	s_delay_alu instid0(VALU_DEP_3) | instskip(SKIP_3) | instid1(VALU_DEP_3)
	v_and_b32_e32 v6, 0xffff, v1
	v_add_co_u32 v1, vcc_lo, v2, s4
	s_wait_alu 0xfffd
	v_add_co_ci_u32_e32 v2, vcc_lo, s5, v3, vcc_lo
	v_lshl_or_b32 v3, v4, 16, v6
	v_lshrrev_b32_e32 v4, 16, v5
	global_store_b32 v[1:2], v3, off
	global_load_b32 v3, v45, s[8:9] offset:360
	s_wait_loadcnt 0x0
	v_lshrrev_b32_e32 v6, 16, v3
	s_delay_alu instid0(VALU_DEP_1) | instskip(SKIP_1) | instid1(VALU_DEP_2)
	v_mul_f16_e32 v7, v4, v6
	v_mul_f16_e32 v6, v5, v6
	v_fmac_f16_e32 v7, v5, v3
	s_delay_alu instid0(VALU_DEP_2) | instskip(NEXT) | instid1(VALU_DEP_2)
	v_fma_f16 v3, v3, v4, -v6
	v_cvt_f32_f16_e32 v4, v7
	s_delay_alu instid0(VALU_DEP_2) | instskip(NEXT) | instid1(VALU_DEP_2)
	v_cvt_f32_f16_e32 v5, v3
	v_cvt_f64_f32_e32 v[3:4], v4
	s_delay_alu instid0(VALU_DEP_2) | instskip(NEXT) | instid1(VALU_DEP_2)
	v_cvt_f64_f32_e32 v[5:6], v5
	v_mul_f64_e32 v[3:4], s[10:11], v[3:4]
	s_delay_alu instid0(VALU_DEP_2) | instskip(NEXT) | instid1(VALU_DEP_2)
	v_mul_f64_e32 v[5:6], s[10:11], v[5:6]
	v_and_or_b32 v3, 0x1ff, v4, v3
	s_delay_alu instid0(VALU_DEP_2)
	v_and_or_b32 v5, 0x1ff, v6, v5
	v_lshrrev_b32_e32 v7, 8, v4
	v_bfe_u32 v8, v4, 20, 11
	v_lshrrev_b32_e32 v9, 8, v6
	v_cmp_ne_u32_e32 vcc_lo, 0, v3
	v_bfe_u32 v10, v6, 20, 11
	v_lshrrev_b32_e32 v4, 16, v4
	v_sub_nc_u32_e32 v11, 0x3f1, v8
	v_add_nc_u32_e32 v8, 0xfffffc10, v8
	s_wait_alu 0xfffd
	v_cndmask_b32_e64 v3, 0, 1, vcc_lo
	v_cmp_ne_u32_e32 vcc_lo, 0, v5
	v_lshrrev_b32_e32 v6, 16, v6
	s_delay_alu instid0(VALU_DEP_3) | instskip(SKIP_4) | instid1(VALU_DEP_3)
	v_and_or_b32 v3, 0xffe, v7, v3
	s_wait_alu 0xfffd
	v_cndmask_b32_e64 v5, 0, 1, vcc_lo
	v_sub_nc_u32_e32 v7, 0x3f1, v10
	v_add_nc_u32_e32 v10, 0xfffffc10, v10
	v_and_or_b32 v5, 0xffe, v9, v5
	v_med3_i32 v9, v11, 0, 13
	v_or_b32_e32 v11, 0x1000, v3
	v_med3_i32 v7, v7, 0, 13
	s_delay_alu instid0(VALU_DEP_4) | instskip(NEXT) | instid1(VALU_DEP_3)
	v_or_b32_e32 v12, 0x1000, v5
	v_lshrrev_b32_e32 v13, v9, v11
	s_delay_alu instid0(VALU_DEP_2) | instskip(NEXT) | instid1(VALU_DEP_2)
	v_lshrrev_b32_e32 v14, v7, v12
	v_lshlrev_b32_e32 v9, v9, v13
	s_delay_alu instid0(VALU_DEP_2) | instskip(NEXT) | instid1(VALU_DEP_2)
	v_lshlrev_b32_e32 v7, v7, v14
	v_cmp_ne_u32_e32 vcc_lo, v9, v11
	v_lshl_or_b32 v11, v8, 12, v3
	s_wait_alu 0xfffd
	v_cndmask_b32_e64 v9, 0, 1, vcc_lo
	v_cmp_ne_u32_e32 vcc_lo, v7, v12
	v_lshl_or_b32 v12, v10, 12, v5
	s_delay_alu instid0(VALU_DEP_3) | instskip(SKIP_3) | instid1(VALU_DEP_2)
	v_or_b32_e32 v9, v13, v9
	s_wait_alu 0xfffd
	v_cndmask_b32_e64 v7, 0, 1, vcc_lo
	v_cmp_gt_i32_e32 vcc_lo, 1, v8
	v_or_b32_e32 v7, v14, v7
	s_wait_alu 0xfffd
	v_cndmask_b32_e32 v9, v11, v9, vcc_lo
	v_cmp_gt_i32_e32 vcc_lo, 1, v10
	s_delay_alu instid0(VALU_DEP_2)
	v_and_b32_e32 v11, 7, v9
	s_wait_alu 0xfffd
	v_cndmask_b32_e32 v7, v12, v7, vcc_lo
	v_cmp_ne_u32_e32 vcc_lo, 0, v3
	v_lshrrev_b32_e32 v9, 2, v9
	v_cmp_eq_u32_e64 s0, 3, v11
	s_delay_alu instid0(VALU_DEP_4)
	v_and_b32_e32 v12, 7, v7
	s_wait_alu 0xfffd
	v_cndmask_b32_e64 v3, 0, 1, vcc_lo
	v_cmp_ne_u32_e32 vcc_lo, 0, v5
	v_lshrrev_b32_e32 v7, 2, v7
	v_cmp_lt_i32_e64 s1, 5, v12
	v_cmp_eq_u32_e64 s2, 3, v12
	s_wait_alu 0xfffd
	v_cndmask_b32_e64 v5, 0, 1, vcc_lo
	v_cmp_lt_i32_e32 vcc_lo, 5, v11
	v_lshl_or_b32 v3, v3, 9, 0x7c00
	s_delay_alu instid0(VALU_DEP_3)
	v_lshl_or_b32 v5, v5, 9, 0x7c00
	s_or_b32 vcc_lo, s0, vcc_lo
	s_wait_alu 0xfffe
	v_add_co_ci_u32_e32 v9, vcc_lo, 0, v9, vcc_lo
	s_or_b32 vcc_lo, s2, s1
	s_wait_alu 0xfffe
	v_add_co_ci_u32_e32 v7, vcc_lo, 0, v7, vcc_lo
	v_cmp_gt_i32_e32 vcc_lo, 31, v8
	s_wait_alu 0xfffd
	v_cndmask_b32_e32 v9, 0x7c00, v9, vcc_lo
	v_cmp_gt_i32_e32 vcc_lo, 31, v10
	s_wait_alu 0xfffd
	v_cndmask_b32_e32 v7, 0x7c00, v7, vcc_lo
	v_cmp_eq_u32_e32 vcc_lo, 0x40f, v8
	s_wait_alu 0xfffd
	v_cndmask_b32_e32 v3, v9, v3, vcc_lo
	v_cmp_eq_u32_e32 vcc_lo, 0x40f, v10
	s_delay_alu instid0(VALU_DEP_2)
	v_and_or_b32 v3, 0x8000, v4, v3
	s_wait_alu 0xfffd
	v_cndmask_b32_e32 v5, v7, v5, vcc_lo
	v_add_co_u32 v1, vcc_lo, v1, s4
	s_wait_alu 0xfffd
	v_add_co_ci_u32_e32 v2, vcc_lo, s5, v2, vcc_lo
	s_delay_alu instid0(VALU_DEP_3) | instskip(SKIP_1) | instid1(VALU_DEP_1)
	v_and_or_b32 v4, 0x8000, v6, v5
	v_and_b32_e32 v3, 0xffff, v3
	v_lshl_or_b32 v3, v4, 16, v3
	global_store_b32 v[1:2], v3, off
	global_load_b32 v5, v45, s[8:9] offset:540
	ds_load_2addr_b32 v[3:4], v0 offset0:135 offset1:180
	s_wait_dscnt 0x0
	v_lshrrev_b32_e32 v6, 16, v3
	s_wait_loadcnt 0x0
	v_lshrrev_b32_e32 v7, 16, v5
	s_delay_alu instid0(VALU_DEP_1) | instskip(SKIP_1) | instid1(VALU_DEP_2)
	v_mul_f16_e32 v8, v6, v7
	v_mul_f16_e32 v7, v3, v7
	v_fmac_f16_e32 v8, v3, v5
	s_delay_alu instid0(VALU_DEP_2) | instskip(NEXT) | instid1(VALU_DEP_2)
	v_fma_f16 v3, v5, v6, -v7
	v_cvt_f32_f16_e32 v5, v8
	s_delay_alu instid0(VALU_DEP_2) | instskip(NEXT) | instid1(VALU_DEP_2)
	v_cvt_f32_f16_e32 v3, v3
	v_cvt_f64_f32_e32 v[5:6], v5
	s_delay_alu instid0(VALU_DEP_2) | instskip(NEXT) | instid1(VALU_DEP_2)
	v_cvt_f64_f32_e32 v[7:8], v3
	v_mul_f64_e32 v[5:6], s[10:11], v[5:6]
	s_delay_alu instid0(VALU_DEP_2) | instskip(NEXT) | instid1(VALU_DEP_2)
	v_mul_f64_e32 v[7:8], s[10:11], v[7:8]
	v_and_or_b32 v3, 0x1ff, v6, v5
	s_delay_alu instid0(VALU_DEP_2)
	v_and_or_b32 v7, 0x1ff, v8, v7
	v_lshrrev_b32_e32 v5, 8, v6
	v_bfe_u32 v9, v6, 20, 11
	v_lshrrev_b32_e32 v10, 8, v8
	v_cmp_ne_u32_e32 vcc_lo, 0, v3
	v_bfe_u32 v11, v8, 20, 11
	v_lshrrev_b32_e32 v6, 16, v6
	v_sub_nc_u32_e32 v12, 0x3f1, v9
	v_add_nc_u32_e32 v9, 0xfffffc10, v9
	s_wait_alu 0xfffd
	v_cndmask_b32_e64 v3, 0, 1, vcc_lo
	v_cmp_ne_u32_e32 vcc_lo, 0, v7
	v_lshrrev_b32_e32 v8, 16, v8
	s_delay_alu instid0(VALU_DEP_3) | instskip(SKIP_4) | instid1(VALU_DEP_3)
	v_and_or_b32 v3, 0xffe, v5, v3
	s_wait_alu 0xfffd
	v_cndmask_b32_e64 v7, 0, 1, vcc_lo
	v_sub_nc_u32_e32 v5, 0x3f1, v11
	v_add_nc_u32_e32 v11, 0xfffffc10, v11
	v_and_or_b32 v7, 0xffe, v10, v7
	v_med3_i32 v10, v12, 0, 13
	v_or_b32_e32 v12, 0x1000, v3
	v_med3_i32 v5, v5, 0, 13
	s_delay_alu instid0(VALU_DEP_4) | instskip(NEXT) | instid1(VALU_DEP_3)
	v_or_b32_e32 v13, 0x1000, v7
	v_lshrrev_b32_e32 v14, v10, v12
	s_delay_alu instid0(VALU_DEP_2) | instskip(NEXT) | instid1(VALU_DEP_2)
	v_lshrrev_b32_e32 v15, v5, v13
	v_lshlrev_b32_e32 v10, v10, v14
	s_delay_alu instid0(VALU_DEP_2) | instskip(NEXT) | instid1(VALU_DEP_2)
	v_lshlrev_b32_e32 v5, v5, v15
	v_cmp_ne_u32_e32 vcc_lo, v10, v12
	v_lshl_or_b32 v12, v9, 12, v3
	s_wait_alu 0xfffd
	v_cndmask_b32_e64 v10, 0, 1, vcc_lo
	v_cmp_ne_u32_e32 vcc_lo, v5, v13
	v_lshl_or_b32 v13, v11, 12, v7
	s_delay_alu instid0(VALU_DEP_3) | instskip(SKIP_3) | instid1(VALU_DEP_2)
	v_or_b32_e32 v10, v14, v10
	s_wait_alu 0xfffd
	v_cndmask_b32_e64 v5, 0, 1, vcc_lo
	v_cmp_gt_i32_e32 vcc_lo, 1, v9
	v_or_b32_e32 v5, v15, v5
	s_wait_alu 0xfffd
	v_cndmask_b32_e32 v10, v12, v10, vcc_lo
	v_cmp_gt_i32_e32 vcc_lo, 1, v11
	s_wait_alu 0xfffd
	s_delay_alu instid0(VALU_DEP_2) | instskip(SKIP_2) | instid1(VALU_DEP_3)
	v_dual_cndmask_b32 v5, v13, v5 :: v_dual_and_b32 v12, 7, v10
	v_cmp_ne_u32_e32 vcc_lo, 0, v3
	v_lshrrev_b32_e32 v10, 2, v10
	v_cmp_eq_u32_e64 s0, 3, v12
	s_delay_alu instid0(VALU_DEP_4)
	v_and_b32_e32 v13, 7, v5
	s_wait_alu 0xfffd
	v_cndmask_b32_e64 v3, 0, 1, vcc_lo
	v_cmp_ne_u32_e32 vcc_lo, 0, v7
	v_lshrrev_b32_e32 v5, 2, v5
	v_cmp_lt_i32_e64 s1, 5, v13
	v_cmp_eq_u32_e64 s2, 3, v13
	s_wait_alu 0xfffd
	v_cndmask_b32_e64 v7, 0, 1, vcc_lo
	v_cmp_lt_i32_e32 vcc_lo, 5, v12
	v_lshl_or_b32 v3, v3, 9, 0x7c00
	s_delay_alu instid0(VALU_DEP_3)
	v_lshl_or_b32 v7, v7, 9, 0x7c00
	s_or_b32 vcc_lo, s0, vcc_lo
	s_wait_alu 0xfffe
	v_add_co_ci_u32_e32 v10, vcc_lo, 0, v10, vcc_lo
	s_or_b32 vcc_lo, s2, s1
	s_wait_alu 0xfffe
	v_add_co_ci_u32_e32 v5, vcc_lo, 0, v5, vcc_lo
	v_cmp_gt_i32_e32 vcc_lo, 31, v9
	s_wait_alu 0xfffd
	v_cndmask_b32_e32 v10, 0x7c00, v10, vcc_lo
	v_cmp_gt_i32_e32 vcc_lo, 31, v11
	s_wait_alu 0xfffd
	v_cndmask_b32_e32 v5, 0x7c00, v5, vcc_lo
	v_cmp_eq_u32_e32 vcc_lo, 0x40f, v9
	s_wait_alu 0xfffd
	v_cndmask_b32_e32 v3, v10, v3, vcc_lo
	v_cmp_eq_u32_e32 vcc_lo, 0x40f, v11
	s_delay_alu instid0(VALU_DEP_2)
	v_and_or_b32 v3, 0x8000, v6, v3
	s_wait_alu 0xfffd
	v_cndmask_b32_e32 v5, v5, v7, vcc_lo
	v_add_co_u32 v1, vcc_lo, v1, s4
	s_wait_alu 0xfffd
	v_add_co_ci_u32_e32 v2, vcc_lo, s5, v2, vcc_lo
	s_delay_alu instid0(VALU_DEP_3) | instskip(SKIP_1) | instid1(VALU_DEP_1)
	v_and_or_b32 v5, 0x8000, v8, v5
	v_and_b32_e32 v3, 0xffff, v3
	v_lshl_or_b32 v3, v5, 16, v3
	v_lshrrev_b32_e32 v5, 16, v4
	global_store_b32 v[1:2], v3, off
	global_load_b32 v3, v45, s[8:9] offset:720
	s_wait_loadcnt 0x0
	v_lshrrev_b32_e32 v6, 16, v3
	s_delay_alu instid0(VALU_DEP_1) | instskip(SKIP_1) | instid1(VALU_DEP_2)
	v_mul_f16_e32 v7, v5, v6
	v_mul_f16_e32 v6, v4, v6
	v_fmac_f16_e32 v7, v4, v3
	s_delay_alu instid0(VALU_DEP_2) | instskip(NEXT) | instid1(VALU_DEP_2)
	v_fma_f16 v3, v3, v5, -v6
	v_cvt_f32_f16_e32 v4, v7
	s_delay_alu instid0(VALU_DEP_2) | instskip(NEXT) | instid1(VALU_DEP_2)
	v_cvt_f32_f16_e32 v5, v3
	v_cvt_f64_f32_e32 v[3:4], v4
	s_delay_alu instid0(VALU_DEP_2) | instskip(NEXT) | instid1(VALU_DEP_2)
	v_cvt_f64_f32_e32 v[5:6], v5
	v_mul_f64_e32 v[3:4], s[10:11], v[3:4]
	s_delay_alu instid0(VALU_DEP_2) | instskip(NEXT) | instid1(VALU_DEP_2)
	v_mul_f64_e32 v[5:6], s[10:11], v[5:6]
	v_and_or_b32 v3, 0x1ff, v4, v3
	s_delay_alu instid0(VALU_DEP_2)
	v_and_or_b32 v5, 0x1ff, v6, v5
	v_lshrrev_b32_e32 v7, 8, v4
	v_bfe_u32 v8, v4, 20, 11
	v_lshrrev_b32_e32 v9, 8, v6
	v_cmp_ne_u32_e32 vcc_lo, 0, v3
	v_bfe_u32 v10, v6, 20, 11
	v_lshrrev_b32_e32 v4, 16, v4
	v_sub_nc_u32_e32 v11, 0x3f1, v8
	v_lshrrev_b32_e32 v6, 16, v6
	s_wait_alu 0xfffd
	v_cndmask_b32_e64 v3, 0, 1, vcc_lo
	v_cmp_ne_u32_e32 vcc_lo, 0, v5
	s_delay_alu instid0(VALU_DEP_2) | instskip(SKIP_4) | instid1(VALU_DEP_3)
	v_and_or_b32 v3, 0xffe, v7, v3
	s_wait_alu 0xfffd
	v_cndmask_b32_e64 v5, 0, 1, vcc_lo
	v_sub_nc_u32_e32 v7, 0x3f1, v10
	v_add_nc_u32_e32 v10, 0xfffffc10, v10
	v_and_or_b32 v5, 0xffe, v9, v5
	v_med3_i32 v9, v11, 0, 13
	v_or_b32_e32 v11, 0x1000, v3
	v_med3_i32 v7, v7, 0, 13
	s_delay_alu instid0(VALU_DEP_4) | instskip(NEXT) | instid1(VALU_DEP_3)
	v_or_b32_e32 v12, 0x1000, v5
	v_lshrrev_b32_e32 v13, v9, v11
	s_delay_alu instid0(VALU_DEP_2) | instskip(NEXT) | instid1(VALU_DEP_2)
	v_lshrrev_b32_e32 v14, v7, v12
	v_lshlrev_b32_e32 v9, v9, v13
	s_delay_alu instid0(VALU_DEP_2) | instskip(NEXT) | instid1(VALU_DEP_2)
	v_lshlrev_b32_e32 v7, v7, v14
	v_cmp_ne_u32_e32 vcc_lo, v9, v11
	s_wait_alu 0xfffd
	v_cndmask_b32_e64 v9, 0, 1, vcc_lo
	s_delay_alu instid0(VALU_DEP_3) | instskip(SKIP_1) | instid1(VALU_DEP_3)
	v_cmp_ne_u32_e32 vcc_lo, v7, v12
	v_lshl_or_b32 v12, v10, 12, v5
	v_or_b32_e32 v9, v13, v9
	s_wait_alu 0xfffd
	v_cndmask_b32_e64 v7, 0, 1, vcc_lo
	s_delay_alu instid0(VALU_DEP_1) | instskip(SKIP_1) | instid1(VALU_DEP_1)
	v_or_b32_e32 v7, v14, v7
	v_add_nc_u32_e32 v8, 0xfffffc10, v8
	v_lshl_or_b32 v11, v8, 12, v3
	v_cmp_gt_i32_e32 vcc_lo, 1, v8
	s_wait_alu 0xfffd
	s_delay_alu instid0(VALU_DEP_2) | instskip(SKIP_1) | instid1(VALU_DEP_2)
	v_cndmask_b32_e32 v9, v11, v9, vcc_lo
	v_cmp_gt_i32_e32 vcc_lo, 1, v10
	v_and_b32_e32 v11, 7, v9
	s_wait_alu 0xfffd
	v_cndmask_b32_e32 v7, v12, v7, vcc_lo
	v_cmp_ne_u32_e32 vcc_lo, 0, v3
	v_lshrrev_b32_e32 v9, 2, v9
	v_cmp_eq_u32_e64 s0, 3, v11
	s_wait_alu 0xfffd
	v_cndmask_b32_e64 v3, 0, 1, vcc_lo
	v_cmp_ne_u32_e32 vcc_lo, 0, v5
	s_delay_alu instid0(VALU_DEP_2) | instskip(SKIP_3) | instid1(VALU_DEP_2)
	v_lshl_or_b32 v3, v3, 9, 0x7c00
	s_wait_alu 0xfffd
	v_cndmask_b32_e64 v5, 0, 1, vcc_lo
	v_cmp_lt_i32_e32 vcc_lo, 5, v11
	v_lshl_or_b32 v5, v5, 9, 0x7c00
	s_or_b32 vcc_lo, s0, vcc_lo
	s_wait_alu 0xfffe
	v_add_co_ci_u32_e32 v9, vcc_lo, 0, v9, vcc_lo
	v_and_b32_e32 v12, 7, v7
	v_lshrrev_b32_e32 v7, 2, v7
	s_delay_alu instid0(VALU_DEP_2) | instskip(SKIP_1) | instid1(VALU_DEP_1)
	v_cmp_lt_i32_e64 s1, 5, v12
	v_cmp_eq_u32_e64 s2, 3, v12
	s_or_b32 vcc_lo, s2, s1
	s_wait_alu 0xfffe
	v_add_co_ci_u32_e32 v7, vcc_lo, 0, v7, vcc_lo
	v_cmp_gt_i32_e32 vcc_lo, 31, v8
	s_wait_alu 0xfffd
	v_cndmask_b32_e32 v9, 0x7c00, v9, vcc_lo
	v_cmp_gt_i32_e32 vcc_lo, 31, v10
	s_wait_alu 0xfffd
	v_cndmask_b32_e32 v7, 0x7c00, v7, vcc_lo
	v_cmp_eq_u32_e32 vcc_lo, 0x40f, v8
	s_wait_alu 0xfffd
	v_cndmask_b32_e32 v3, v9, v3, vcc_lo
	v_cmp_eq_u32_e32 vcc_lo, 0x40f, v10
	s_delay_alu instid0(VALU_DEP_2)
	v_and_or_b32 v3, 0x8000, v4, v3
	s_wait_alu 0xfffd
	v_cndmask_b32_e32 v5, v7, v5, vcc_lo
	v_add_co_u32 v1, vcc_lo, v1, s4
	s_wait_alu 0xfffd
	v_add_co_ci_u32_e32 v2, vcc_lo, s5, v2, vcc_lo
	s_delay_alu instid0(VALU_DEP_3) | instskip(SKIP_1) | instid1(VALU_DEP_1)
	v_and_or_b32 v4, 0x8000, v6, v5
	v_and_b32_e32 v3, 0xffff, v3
	v_lshl_or_b32 v3, v4, 16, v3
	global_store_b32 v[1:2], v3, off
	global_load_b32 v5, v45, s[8:9] offset:900
	v_add_nc_u32_e32 v3, 0x200, v0
	ds_load_2addr_b32 v[3:4], v3 offset0:97 offset1:142
	s_wait_dscnt 0x0
	v_lshrrev_b32_e32 v6, 16, v3
	s_wait_loadcnt 0x0
	v_lshrrev_b32_e32 v7, 16, v5
	s_delay_alu instid0(VALU_DEP_1) | instskip(SKIP_1) | instid1(VALU_DEP_2)
	v_mul_f16_e32 v8, v6, v7
	v_mul_f16_e32 v7, v3, v7
	v_fmac_f16_e32 v8, v3, v5
	s_delay_alu instid0(VALU_DEP_2) | instskip(NEXT) | instid1(VALU_DEP_2)
	v_fma_f16 v3, v5, v6, -v7
	v_cvt_f32_f16_e32 v5, v8
	s_delay_alu instid0(VALU_DEP_2) | instskip(NEXT) | instid1(VALU_DEP_2)
	v_cvt_f32_f16_e32 v3, v3
	v_cvt_f64_f32_e32 v[5:6], v5
	s_delay_alu instid0(VALU_DEP_2) | instskip(NEXT) | instid1(VALU_DEP_2)
	v_cvt_f64_f32_e32 v[7:8], v3
	v_mul_f64_e32 v[5:6], s[10:11], v[5:6]
	s_delay_alu instid0(VALU_DEP_2) | instskip(NEXT) | instid1(VALU_DEP_2)
	v_mul_f64_e32 v[7:8], s[10:11], v[7:8]
	v_and_or_b32 v3, 0x1ff, v6, v5
	s_delay_alu instid0(VALU_DEP_2)
	v_and_or_b32 v7, 0x1ff, v8, v7
	v_lshrrev_b32_e32 v5, 8, v6
	v_bfe_u32 v9, v6, 20, 11
	v_lshrrev_b32_e32 v10, 8, v8
	v_cmp_ne_u32_e32 vcc_lo, 0, v3
	v_bfe_u32 v11, v8, 20, 11
	v_lshrrev_b32_e32 v6, 16, v6
	v_sub_nc_u32_e32 v12, 0x3f1, v9
	v_add_nc_u32_e32 v9, 0xfffffc10, v9
	s_wait_alu 0xfffd
	v_cndmask_b32_e64 v3, 0, 1, vcc_lo
	v_cmp_ne_u32_e32 vcc_lo, 0, v7
	v_lshrrev_b32_e32 v8, 16, v8
	s_delay_alu instid0(VALU_DEP_3) | instskip(SKIP_4) | instid1(VALU_DEP_3)
	v_and_or_b32 v3, 0xffe, v5, v3
	s_wait_alu 0xfffd
	v_cndmask_b32_e64 v7, 0, 1, vcc_lo
	v_sub_nc_u32_e32 v5, 0x3f1, v11
	v_add_nc_u32_e32 v11, 0xfffffc10, v11
	v_and_or_b32 v7, 0xffe, v10, v7
	v_med3_i32 v10, v12, 0, 13
	v_or_b32_e32 v12, 0x1000, v3
	v_med3_i32 v5, v5, 0, 13
	s_delay_alu instid0(VALU_DEP_4) | instskip(NEXT) | instid1(VALU_DEP_3)
	v_or_b32_e32 v13, 0x1000, v7
	v_lshrrev_b32_e32 v14, v10, v12
	s_delay_alu instid0(VALU_DEP_2) | instskip(NEXT) | instid1(VALU_DEP_2)
	v_lshrrev_b32_e32 v15, v5, v13
	v_lshlrev_b32_e32 v10, v10, v14
	s_delay_alu instid0(VALU_DEP_2) | instskip(NEXT) | instid1(VALU_DEP_2)
	v_lshlrev_b32_e32 v5, v5, v15
	v_cmp_ne_u32_e32 vcc_lo, v10, v12
	v_lshl_or_b32 v12, v9, 12, v3
	s_wait_alu 0xfffd
	v_cndmask_b32_e64 v10, 0, 1, vcc_lo
	v_cmp_ne_u32_e32 vcc_lo, v5, v13
	v_lshl_or_b32 v13, v11, 12, v7
	s_delay_alu instid0(VALU_DEP_3) | instskip(SKIP_3) | instid1(VALU_DEP_2)
	v_or_b32_e32 v10, v14, v10
	s_wait_alu 0xfffd
	v_cndmask_b32_e64 v5, 0, 1, vcc_lo
	v_cmp_gt_i32_e32 vcc_lo, 1, v9
	v_or_b32_e32 v5, v15, v5
	s_wait_alu 0xfffd
	v_cndmask_b32_e32 v10, v12, v10, vcc_lo
	v_cmp_gt_i32_e32 vcc_lo, 1, v11
	s_wait_alu 0xfffd
	s_delay_alu instid0(VALU_DEP_2) | instskip(SKIP_2) | instid1(VALU_DEP_3)
	v_dual_cndmask_b32 v5, v13, v5 :: v_dual_and_b32 v12, 7, v10
	v_cmp_ne_u32_e32 vcc_lo, 0, v3
	v_lshrrev_b32_e32 v10, 2, v10
	v_cmp_eq_u32_e64 s0, 3, v12
	s_delay_alu instid0(VALU_DEP_4)
	v_and_b32_e32 v13, 7, v5
	s_wait_alu 0xfffd
	v_cndmask_b32_e64 v3, 0, 1, vcc_lo
	v_cmp_ne_u32_e32 vcc_lo, 0, v7
	v_lshrrev_b32_e32 v5, 2, v5
	v_cmp_lt_i32_e64 s1, 5, v13
	v_cmp_eq_u32_e64 s2, 3, v13
	s_wait_alu 0xfffd
	v_cndmask_b32_e64 v7, 0, 1, vcc_lo
	v_cmp_lt_i32_e32 vcc_lo, 5, v12
	v_lshl_or_b32 v3, v3, 9, 0x7c00
	s_delay_alu instid0(VALU_DEP_3)
	v_lshl_or_b32 v7, v7, 9, 0x7c00
	s_or_b32 vcc_lo, s0, vcc_lo
	s_wait_alu 0xfffe
	v_add_co_ci_u32_e32 v10, vcc_lo, 0, v10, vcc_lo
	s_or_b32 vcc_lo, s2, s1
	s_wait_alu 0xfffe
	v_add_co_ci_u32_e32 v5, vcc_lo, 0, v5, vcc_lo
	v_cmp_gt_i32_e32 vcc_lo, 31, v9
	s_wait_alu 0xfffd
	v_cndmask_b32_e32 v10, 0x7c00, v10, vcc_lo
	v_cmp_gt_i32_e32 vcc_lo, 31, v11
	s_wait_alu 0xfffd
	v_cndmask_b32_e32 v5, 0x7c00, v5, vcc_lo
	v_cmp_eq_u32_e32 vcc_lo, 0x40f, v9
	s_wait_alu 0xfffd
	v_cndmask_b32_e32 v3, v10, v3, vcc_lo
	v_cmp_eq_u32_e32 vcc_lo, 0x40f, v11
	s_delay_alu instid0(VALU_DEP_2)
	v_and_or_b32 v3, 0x8000, v6, v3
	s_wait_alu 0xfffd
	v_cndmask_b32_e32 v5, v5, v7, vcc_lo
	v_add_co_u32 v1, vcc_lo, v1, s4
	s_wait_alu 0xfffd
	v_add_co_ci_u32_e32 v2, vcc_lo, s5, v2, vcc_lo
	s_delay_alu instid0(VALU_DEP_3) | instskip(SKIP_1) | instid1(VALU_DEP_1)
	v_and_or_b32 v5, 0x8000, v8, v5
	v_and_b32_e32 v3, 0xffff, v3
	v_lshl_or_b32 v3, v5, 16, v3
	v_lshrrev_b32_e32 v5, 16, v4
	global_store_b32 v[1:2], v3, off
	global_load_b32 v3, v45, s[8:9] offset:1080
	s_wait_loadcnt 0x0
	v_lshrrev_b32_e32 v6, 16, v3
	s_delay_alu instid0(VALU_DEP_1) | instskip(SKIP_1) | instid1(VALU_DEP_2)
	v_mul_f16_e32 v7, v5, v6
	v_mul_f16_e32 v6, v4, v6
	v_fmac_f16_e32 v7, v4, v3
	s_delay_alu instid0(VALU_DEP_2) | instskip(NEXT) | instid1(VALU_DEP_2)
	v_fma_f16 v3, v3, v5, -v6
	v_cvt_f32_f16_e32 v4, v7
	s_delay_alu instid0(VALU_DEP_2) | instskip(NEXT) | instid1(VALU_DEP_2)
	v_cvt_f32_f16_e32 v5, v3
	v_cvt_f64_f32_e32 v[3:4], v4
	s_delay_alu instid0(VALU_DEP_2) | instskip(NEXT) | instid1(VALU_DEP_2)
	v_cvt_f64_f32_e32 v[5:6], v5
	v_mul_f64_e32 v[3:4], s[10:11], v[3:4]
	s_delay_alu instid0(VALU_DEP_2) | instskip(NEXT) | instid1(VALU_DEP_2)
	v_mul_f64_e32 v[5:6], s[10:11], v[5:6]
	v_and_or_b32 v3, 0x1ff, v4, v3
	s_delay_alu instid0(VALU_DEP_2)
	v_and_or_b32 v5, 0x1ff, v6, v5
	v_lshrrev_b32_e32 v7, 8, v4
	v_bfe_u32 v8, v4, 20, 11
	v_lshrrev_b32_e32 v9, 8, v6
	v_cmp_ne_u32_e32 vcc_lo, 0, v3
	v_bfe_u32 v10, v6, 20, 11
	v_lshrrev_b32_e32 v4, 16, v4
	v_sub_nc_u32_e32 v11, 0x3f1, v8
	v_add_nc_u32_e32 v8, 0xfffffc10, v8
	s_wait_alu 0xfffd
	v_cndmask_b32_e64 v3, 0, 1, vcc_lo
	v_cmp_ne_u32_e32 vcc_lo, 0, v5
	v_lshrrev_b32_e32 v6, 16, v6
	s_delay_alu instid0(VALU_DEP_3) | instskip(SKIP_4) | instid1(VALU_DEP_3)
	v_and_or_b32 v3, 0xffe, v7, v3
	s_wait_alu 0xfffd
	v_cndmask_b32_e64 v5, 0, 1, vcc_lo
	v_sub_nc_u32_e32 v7, 0x3f1, v10
	v_add_nc_u32_e32 v10, 0xfffffc10, v10
	v_and_or_b32 v5, 0xffe, v9, v5
	v_med3_i32 v9, v11, 0, 13
	v_or_b32_e32 v11, 0x1000, v3
	v_med3_i32 v7, v7, 0, 13
	s_delay_alu instid0(VALU_DEP_4) | instskip(NEXT) | instid1(VALU_DEP_3)
	v_or_b32_e32 v12, 0x1000, v5
	v_lshrrev_b32_e32 v13, v9, v11
	s_delay_alu instid0(VALU_DEP_2) | instskip(NEXT) | instid1(VALU_DEP_2)
	v_lshrrev_b32_e32 v14, v7, v12
	v_lshlrev_b32_e32 v9, v9, v13
	s_delay_alu instid0(VALU_DEP_2) | instskip(NEXT) | instid1(VALU_DEP_2)
	v_lshlrev_b32_e32 v7, v7, v14
	v_cmp_ne_u32_e32 vcc_lo, v9, v11
	v_lshl_or_b32 v11, v8, 12, v3
	s_wait_alu 0xfffd
	v_cndmask_b32_e64 v9, 0, 1, vcc_lo
	v_cmp_ne_u32_e32 vcc_lo, v7, v12
	v_lshl_or_b32 v12, v10, 12, v5
	s_delay_alu instid0(VALU_DEP_3) | instskip(SKIP_3) | instid1(VALU_DEP_2)
	v_or_b32_e32 v9, v13, v9
	s_wait_alu 0xfffd
	v_cndmask_b32_e64 v7, 0, 1, vcc_lo
	v_cmp_gt_i32_e32 vcc_lo, 1, v8
	v_or_b32_e32 v7, v14, v7
	s_wait_alu 0xfffd
	v_cndmask_b32_e32 v9, v11, v9, vcc_lo
	v_cmp_gt_i32_e32 vcc_lo, 1, v10
	s_delay_alu instid0(VALU_DEP_2)
	v_and_b32_e32 v11, 7, v9
	s_wait_alu 0xfffd
	v_cndmask_b32_e32 v7, v12, v7, vcc_lo
	v_cmp_ne_u32_e32 vcc_lo, 0, v3
	v_lshrrev_b32_e32 v9, 2, v9
	v_cmp_eq_u32_e64 s0, 3, v11
	s_delay_alu instid0(VALU_DEP_4)
	v_and_b32_e32 v12, 7, v7
	s_wait_alu 0xfffd
	v_cndmask_b32_e64 v3, 0, 1, vcc_lo
	v_cmp_ne_u32_e32 vcc_lo, 0, v5
	v_lshrrev_b32_e32 v7, 2, v7
	v_cmp_lt_i32_e64 s1, 5, v12
	v_cmp_eq_u32_e64 s2, 3, v12
	s_wait_alu 0xfffd
	v_cndmask_b32_e64 v5, 0, 1, vcc_lo
	v_cmp_lt_i32_e32 vcc_lo, 5, v11
	v_lshl_or_b32 v3, v3, 9, 0x7c00
	s_delay_alu instid0(VALU_DEP_3)
	v_lshl_or_b32 v5, v5, 9, 0x7c00
	s_or_b32 vcc_lo, s0, vcc_lo
	s_wait_alu 0xfffe
	v_add_co_ci_u32_e32 v9, vcc_lo, 0, v9, vcc_lo
	s_or_b32 vcc_lo, s2, s1
	s_wait_alu 0xfffe
	v_add_co_ci_u32_e32 v7, vcc_lo, 0, v7, vcc_lo
	v_cmp_gt_i32_e32 vcc_lo, 31, v8
	s_wait_alu 0xfffd
	v_cndmask_b32_e32 v9, 0x7c00, v9, vcc_lo
	v_cmp_gt_i32_e32 vcc_lo, 31, v10
	s_wait_alu 0xfffd
	v_cndmask_b32_e32 v7, 0x7c00, v7, vcc_lo
	v_cmp_eq_u32_e32 vcc_lo, 0x40f, v8
	s_wait_alu 0xfffd
	v_cndmask_b32_e32 v3, v9, v3, vcc_lo
	v_cmp_eq_u32_e32 vcc_lo, 0x40f, v10
	v_add_nc_u32_e32 v9, 0x400, v0
	s_delay_alu instid0(VALU_DEP_3)
	v_and_or_b32 v3, 0x8000, v4, v3
	s_wait_alu 0xfffd
	v_cndmask_b32_e32 v5, v7, v5, vcc_lo
	v_add_co_u32 v1, vcc_lo, v1, s4
	s_wait_alu 0xfffd
	v_add_co_ci_u32_e32 v2, vcc_lo, s5, v2, vcc_lo
	s_delay_alu instid0(VALU_DEP_3) | instskip(SKIP_1) | instid1(VALU_DEP_1)
	v_and_or_b32 v4, 0x8000, v6, v5
	v_and_b32_e32 v3, 0xffff, v3
	v_lshl_or_b32 v3, v4, 16, v3
	global_store_b32 v[1:2], v3, off
	global_load_b32 v5, v45, s[8:9] offset:1260
	ds_load_2addr_b32 v[3:4], v9 offset0:59 offset1:104
	s_wait_dscnt 0x0
	v_lshrrev_b32_e32 v6, 16, v3
	s_wait_loadcnt 0x0
	v_lshrrev_b32_e32 v7, 16, v5
	s_delay_alu instid0(VALU_DEP_1) | instskip(SKIP_1) | instid1(VALU_DEP_2)
	v_mul_f16_e32 v8, v6, v7
	v_mul_f16_e32 v7, v3, v7
	v_fmac_f16_e32 v8, v3, v5
	s_delay_alu instid0(VALU_DEP_2) | instskip(NEXT) | instid1(VALU_DEP_2)
	v_fma_f16 v3, v5, v6, -v7
	v_cvt_f32_f16_e32 v5, v8
	s_delay_alu instid0(VALU_DEP_2) | instskip(NEXT) | instid1(VALU_DEP_2)
	v_cvt_f32_f16_e32 v3, v3
	v_cvt_f64_f32_e32 v[5:6], v5
	s_delay_alu instid0(VALU_DEP_2) | instskip(NEXT) | instid1(VALU_DEP_2)
	v_cvt_f64_f32_e32 v[7:8], v3
	v_mul_f64_e32 v[5:6], s[10:11], v[5:6]
	s_delay_alu instid0(VALU_DEP_2) | instskip(NEXT) | instid1(VALU_DEP_2)
	v_mul_f64_e32 v[7:8], s[10:11], v[7:8]
	v_and_or_b32 v3, 0x1ff, v6, v5
	s_delay_alu instid0(VALU_DEP_2)
	v_and_or_b32 v7, 0x1ff, v8, v7
	v_lshrrev_b32_e32 v5, 8, v6
	v_bfe_u32 v10, v6, 20, 11
	v_lshrrev_b32_e32 v11, 8, v8
	v_cmp_ne_u32_e32 vcc_lo, 0, v3
	v_bfe_u32 v12, v8, 20, 11
	v_lshrrev_b32_e32 v6, 16, v6
	v_sub_nc_u32_e32 v13, 0x3f1, v10
	v_add_nc_u32_e32 v10, 0xfffffc10, v10
	s_wait_alu 0xfffd
	v_cndmask_b32_e64 v3, 0, 1, vcc_lo
	v_cmp_ne_u32_e32 vcc_lo, 0, v7
	v_lshrrev_b32_e32 v8, 16, v8
	s_delay_alu instid0(VALU_DEP_3) | instskip(SKIP_4) | instid1(VALU_DEP_3)
	v_and_or_b32 v3, 0xffe, v5, v3
	s_wait_alu 0xfffd
	v_cndmask_b32_e64 v7, 0, 1, vcc_lo
	v_sub_nc_u32_e32 v5, 0x3f1, v12
	v_add_nc_u32_e32 v12, 0xfffffc10, v12
	v_and_or_b32 v7, 0xffe, v11, v7
	v_med3_i32 v11, v13, 0, 13
	v_or_b32_e32 v13, 0x1000, v3
	v_med3_i32 v5, v5, 0, 13
	s_delay_alu instid0(VALU_DEP_4) | instskip(NEXT) | instid1(VALU_DEP_3)
	v_or_b32_e32 v14, 0x1000, v7
	v_lshrrev_b32_e32 v15, v11, v13
	s_delay_alu instid0(VALU_DEP_2) | instskip(NEXT) | instid1(VALU_DEP_2)
	v_lshrrev_b32_e32 v16, v5, v14
	v_lshlrev_b32_e32 v11, v11, v15
	s_delay_alu instid0(VALU_DEP_2) | instskip(NEXT) | instid1(VALU_DEP_2)
	v_lshlrev_b32_e32 v5, v5, v16
	v_cmp_ne_u32_e32 vcc_lo, v11, v13
	v_lshl_or_b32 v13, v10, 12, v3
	s_wait_alu 0xfffd
	v_cndmask_b32_e64 v11, 0, 1, vcc_lo
	v_cmp_ne_u32_e32 vcc_lo, v5, v14
	v_lshl_or_b32 v14, v12, 12, v7
	s_delay_alu instid0(VALU_DEP_3) | instskip(SKIP_3) | instid1(VALU_DEP_2)
	v_or_b32_e32 v11, v15, v11
	s_wait_alu 0xfffd
	v_cndmask_b32_e64 v5, 0, 1, vcc_lo
	v_cmp_gt_i32_e32 vcc_lo, 1, v10
	v_or_b32_e32 v5, v16, v5
	s_wait_alu 0xfffd
	v_cndmask_b32_e32 v11, v13, v11, vcc_lo
	v_cmp_gt_i32_e32 vcc_lo, 1, v12
	s_delay_alu instid0(VALU_DEP_2)
	v_and_b32_e32 v13, 7, v11
	s_wait_alu 0xfffd
	v_cndmask_b32_e32 v5, v14, v5, vcc_lo
	v_cmp_ne_u32_e32 vcc_lo, 0, v3
	v_lshrrev_b32_e32 v11, 2, v11
	v_cmp_eq_u32_e64 s0, 3, v13
	s_delay_alu instid0(VALU_DEP_4)
	v_and_b32_e32 v14, 7, v5
	s_wait_alu 0xfffd
	v_cndmask_b32_e64 v3, 0, 1, vcc_lo
	v_cmp_ne_u32_e32 vcc_lo, 0, v7
	v_lshrrev_b32_e32 v5, 2, v5
	v_cmp_lt_i32_e64 s1, 5, v14
	v_cmp_eq_u32_e64 s2, 3, v14
	s_wait_alu 0xfffd
	v_cndmask_b32_e64 v7, 0, 1, vcc_lo
	v_cmp_lt_i32_e32 vcc_lo, 5, v13
	v_lshl_or_b32 v3, v3, 9, 0x7c00
	s_delay_alu instid0(VALU_DEP_3)
	v_lshl_or_b32 v7, v7, 9, 0x7c00
	s_or_b32 vcc_lo, s0, vcc_lo
	s_wait_alu 0xfffe
	v_add_co_ci_u32_e32 v11, vcc_lo, 0, v11, vcc_lo
	s_or_b32 vcc_lo, s2, s1
	s_wait_alu 0xfffe
	v_add_co_ci_u32_e32 v5, vcc_lo, 0, v5, vcc_lo
	v_cmp_gt_i32_e32 vcc_lo, 31, v10
	s_wait_alu 0xfffd
	v_cndmask_b32_e32 v11, 0x7c00, v11, vcc_lo
	v_cmp_gt_i32_e32 vcc_lo, 31, v12
	s_wait_alu 0xfffd
	v_cndmask_b32_e32 v5, 0x7c00, v5, vcc_lo
	v_cmp_eq_u32_e32 vcc_lo, 0x40f, v10
	s_wait_alu 0xfffd
	v_cndmask_b32_e32 v3, v11, v3, vcc_lo
	v_cmp_eq_u32_e32 vcc_lo, 0x40f, v12
	s_delay_alu instid0(VALU_DEP_2)
	v_and_or_b32 v3, 0x8000, v6, v3
	s_wait_alu 0xfffd
	v_cndmask_b32_e32 v5, v5, v7, vcc_lo
	v_add_co_u32 v1, vcc_lo, v1, s4
	s_wait_alu 0xfffd
	v_add_co_ci_u32_e32 v2, vcc_lo, s5, v2, vcc_lo
	s_delay_alu instid0(VALU_DEP_3) | instskip(SKIP_1) | instid1(VALU_DEP_1)
	v_and_or_b32 v5, 0x8000, v8, v5
	v_and_b32_e32 v3, 0xffff, v3
	v_lshl_or_b32 v3, v5, 16, v3
	v_lshrrev_b32_e32 v5, 16, v4
	global_store_b32 v[1:2], v3, off
	global_load_b32 v3, v45, s[8:9] offset:1440
	s_wait_loadcnt 0x0
	v_lshrrev_b32_e32 v6, 16, v3
	s_delay_alu instid0(VALU_DEP_1) | instskip(SKIP_1) | instid1(VALU_DEP_2)
	v_mul_f16_e32 v7, v5, v6
	v_mul_f16_e32 v6, v4, v6
	v_fmac_f16_e32 v7, v4, v3
	s_delay_alu instid0(VALU_DEP_2) | instskip(NEXT) | instid1(VALU_DEP_2)
	v_fma_f16 v3, v3, v5, -v6
	v_cvt_f32_f16_e32 v4, v7
	s_delay_alu instid0(VALU_DEP_2) | instskip(NEXT) | instid1(VALU_DEP_2)
	v_cvt_f32_f16_e32 v5, v3
	v_cvt_f64_f32_e32 v[3:4], v4
	s_delay_alu instid0(VALU_DEP_2) | instskip(NEXT) | instid1(VALU_DEP_2)
	v_cvt_f64_f32_e32 v[5:6], v5
	v_mul_f64_e32 v[3:4], s[10:11], v[3:4]
	s_delay_alu instid0(VALU_DEP_2) | instskip(NEXT) | instid1(VALU_DEP_2)
	v_mul_f64_e32 v[5:6], s[10:11], v[5:6]
	v_and_or_b32 v3, 0x1ff, v4, v3
	s_delay_alu instid0(VALU_DEP_2)
	v_and_or_b32 v5, 0x1ff, v6, v5
	v_lshrrev_b32_e32 v7, 8, v4
	v_bfe_u32 v8, v4, 20, 11
	v_lshrrev_b32_e32 v10, 8, v6
	v_cmp_ne_u32_e32 vcc_lo, 0, v3
	v_bfe_u32 v11, v6, 20, 11
	v_lshrrev_b32_e32 v4, 16, v4
	v_sub_nc_u32_e32 v12, 0x3f1, v8
	v_add_nc_u32_e32 v8, 0xfffffc10, v8
	s_wait_alu 0xfffd
	v_cndmask_b32_e64 v3, 0, 1, vcc_lo
	v_cmp_ne_u32_e32 vcc_lo, 0, v5
	v_lshrrev_b32_e32 v6, 16, v6
	s_delay_alu instid0(VALU_DEP_3) | instskip(SKIP_4) | instid1(VALU_DEP_3)
	v_and_or_b32 v3, 0xffe, v7, v3
	s_wait_alu 0xfffd
	v_cndmask_b32_e64 v5, 0, 1, vcc_lo
	v_sub_nc_u32_e32 v7, 0x3f1, v11
	v_add_nc_u32_e32 v11, 0xfffffc10, v11
	v_and_or_b32 v5, 0xffe, v10, v5
	v_med3_i32 v10, v12, 0, 13
	v_or_b32_e32 v12, 0x1000, v3
	v_med3_i32 v7, v7, 0, 13
	s_delay_alu instid0(VALU_DEP_4) | instskip(NEXT) | instid1(VALU_DEP_3)
	v_or_b32_e32 v13, 0x1000, v5
	v_lshrrev_b32_e32 v14, v10, v12
	s_delay_alu instid0(VALU_DEP_2) | instskip(NEXT) | instid1(VALU_DEP_2)
	v_lshrrev_b32_e32 v15, v7, v13
	v_lshlrev_b32_e32 v10, v10, v14
	s_delay_alu instid0(VALU_DEP_2) | instskip(NEXT) | instid1(VALU_DEP_2)
	v_lshlrev_b32_e32 v7, v7, v15
	v_cmp_ne_u32_e32 vcc_lo, v10, v12
	v_lshl_or_b32 v12, v8, 12, v3
	s_wait_alu 0xfffd
	v_cndmask_b32_e64 v10, 0, 1, vcc_lo
	v_cmp_ne_u32_e32 vcc_lo, v7, v13
	v_lshl_or_b32 v13, v11, 12, v5
	s_delay_alu instid0(VALU_DEP_3) | instskip(SKIP_3) | instid1(VALU_DEP_2)
	v_or_b32_e32 v10, v14, v10
	s_wait_alu 0xfffd
	v_cndmask_b32_e64 v7, 0, 1, vcc_lo
	v_cmp_gt_i32_e32 vcc_lo, 1, v8
	v_or_b32_e32 v7, v15, v7
	s_wait_alu 0xfffd
	v_cndmask_b32_e32 v10, v12, v10, vcc_lo
	v_cmp_gt_i32_e32 vcc_lo, 1, v11
	s_wait_alu 0xfffd
	s_delay_alu instid0(VALU_DEP_2) | instskip(SKIP_2) | instid1(VALU_DEP_3)
	v_dual_cndmask_b32 v7, v13, v7 :: v_dual_and_b32 v12, 7, v10
	v_cmp_ne_u32_e32 vcc_lo, 0, v3
	v_lshrrev_b32_e32 v10, 2, v10
	v_cmp_eq_u32_e64 s0, 3, v12
	s_delay_alu instid0(VALU_DEP_4)
	v_and_b32_e32 v13, 7, v7
	s_wait_alu 0xfffd
	v_cndmask_b32_e64 v3, 0, 1, vcc_lo
	v_cmp_ne_u32_e32 vcc_lo, 0, v5
	v_lshrrev_b32_e32 v7, 2, v7
	v_cmp_lt_i32_e64 s1, 5, v13
	v_cmp_eq_u32_e64 s2, 3, v13
	s_wait_alu 0xfffd
	v_cndmask_b32_e64 v5, 0, 1, vcc_lo
	v_cmp_lt_i32_e32 vcc_lo, 5, v12
	v_lshl_or_b32 v3, v3, 9, 0x7c00
	s_delay_alu instid0(VALU_DEP_3)
	v_lshl_or_b32 v5, v5, 9, 0x7c00
	s_or_b32 vcc_lo, s0, vcc_lo
	s_wait_alu 0xfffe
	v_add_co_ci_u32_e32 v10, vcc_lo, 0, v10, vcc_lo
	s_or_b32 vcc_lo, s2, s1
	s_wait_alu 0xfffe
	v_add_co_ci_u32_e32 v7, vcc_lo, 0, v7, vcc_lo
	v_cmp_gt_i32_e32 vcc_lo, 31, v8
	s_wait_alu 0xfffd
	v_cndmask_b32_e32 v10, 0x7c00, v10, vcc_lo
	v_cmp_gt_i32_e32 vcc_lo, 31, v11
	s_wait_alu 0xfffd
	v_cndmask_b32_e32 v7, 0x7c00, v7, vcc_lo
	v_cmp_eq_u32_e32 vcc_lo, 0x40f, v8
	s_wait_alu 0xfffd
	v_cndmask_b32_e32 v3, v10, v3, vcc_lo
	v_cmp_eq_u32_e32 vcc_lo, 0x40f, v11
	s_delay_alu instid0(VALU_DEP_2)
	v_and_or_b32 v3, 0x8000, v4, v3
	s_wait_alu 0xfffd
	v_cndmask_b32_e32 v5, v7, v5, vcc_lo
	v_add_co_u32 v1, vcc_lo, v1, s4
	s_wait_alu 0xfffd
	v_add_co_ci_u32_e32 v2, vcc_lo, s5, v2, vcc_lo
	s_delay_alu instid0(VALU_DEP_3) | instskip(SKIP_1) | instid1(VALU_DEP_1)
	v_and_or_b32 v4, 0x8000, v6, v5
	v_and_b32_e32 v3, 0xffff, v3
	v_lshl_or_b32 v3, v4, 16, v3
	global_store_b32 v[1:2], v3, off
	global_load_b32 v5, v45, s[8:9] offset:1620
	ds_load_2addr_b32 v[3:4], v9 offset0:149 offset1:194
	s_wait_dscnt 0x0
	v_lshrrev_b32_e32 v6, 16, v3
	s_wait_loadcnt 0x0
	v_lshrrev_b32_e32 v7, 16, v5
	s_delay_alu instid0(VALU_DEP_1) | instskip(SKIP_1) | instid1(VALU_DEP_2)
	v_mul_f16_e32 v8, v6, v7
	v_mul_f16_e32 v7, v3, v7
	v_fmac_f16_e32 v8, v3, v5
	s_delay_alu instid0(VALU_DEP_2) | instskip(NEXT) | instid1(VALU_DEP_2)
	v_fma_f16 v3, v5, v6, -v7
	v_cvt_f32_f16_e32 v5, v8
	s_delay_alu instid0(VALU_DEP_2) | instskip(NEXT) | instid1(VALU_DEP_2)
	v_cvt_f32_f16_e32 v3, v3
	v_cvt_f64_f32_e32 v[5:6], v5
	s_delay_alu instid0(VALU_DEP_2) | instskip(NEXT) | instid1(VALU_DEP_2)
	v_cvt_f64_f32_e32 v[7:8], v3
	v_mul_f64_e32 v[5:6], s[10:11], v[5:6]
	s_delay_alu instid0(VALU_DEP_2) | instskip(NEXT) | instid1(VALU_DEP_2)
	v_mul_f64_e32 v[7:8], s[10:11], v[7:8]
	v_and_or_b32 v3, 0x1ff, v6, v5
	s_delay_alu instid0(VALU_DEP_2)
	v_and_or_b32 v7, 0x1ff, v8, v7
	v_lshrrev_b32_e32 v5, 8, v6
	v_bfe_u32 v9, v6, 20, 11
	v_lshrrev_b32_e32 v10, 8, v8
	v_cmp_ne_u32_e32 vcc_lo, 0, v3
	v_bfe_u32 v11, v8, 20, 11
	v_lshrrev_b32_e32 v6, 16, v6
	v_sub_nc_u32_e32 v12, 0x3f1, v9
	v_add_nc_u32_e32 v9, 0xfffffc10, v9
	s_wait_alu 0xfffd
	v_cndmask_b32_e64 v3, 0, 1, vcc_lo
	v_cmp_ne_u32_e32 vcc_lo, 0, v7
	v_lshrrev_b32_e32 v8, 16, v8
	s_delay_alu instid0(VALU_DEP_3) | instskip(SKIP_4) | instid1(VALU_DEP_3)
	v_and_or_b32 v3, 0xffe, v5, v3
	s_wait_alu 0xfffd
	v_cndmask_b32_e64 v7, 0, 1, vcc_lo
	v_sub_nc_u32_e32 v5, 0x3f1, v11
	v_add_nc_u32_e32 v11, 0xfffffc10, v11
	v_and_or_b32 v7, 0xffe, v10, v7
	v_med3_i32 v10, v12, 0, 13
	v_or_b32_e32 v12, 0x1000, v3
	v_med3_i32 v5, v5, 0, 13
	s_delay_alu instid0(VALU_DEP_4) | instskip(NEXT) | instid1(VALU_DEP_3)
	v_or_b32_e32 v13, 0x1000, v7
	v_lshrrev_b32_e32 v14, v10, v12
	s_delay_alu instid0(VALU_DEP_2) | instskip(NEXT) | instid1(VALU_DEP_2)
	v_lshrrev_b32_e32 v15, v5, v13
	v_lshlrev_b32_e32 v10, v10, v14
	s_delay_alu instid0(VALU_DEP_2) | instskip(NEXT) | instid1(VALU_DEP_2)
	v_lshlrev_b32_e32 v5, v5, v15
	v_cmp_ne_u32_e32 vcc_lo, v10, v12
	v_lshl_or_b32 v12, v9, 12, v3
	s_wait_alu 0xfffd
	v_cndmask_b32_e64 v10, 0, 1, vcc_lo
	v_cmp_ne_u32_e32 vcc_lo, v5, v13
	v_lshl_or_b32 v13, v11, 12, v7
	s_delay_alu instid0(VALU_DEP_3) | instskip(SKIP_3) | instid1(VALU_DEP_2)
	v_or_b32_e32 v10, v14, v10
	s_wait_alu 0xfffd
	v_cndmask_b32_e64 v5, 0, 1, vcc_lo
	v_cmp_gt_i32_e32 vcc_lo, 1, v9
	v_or_b32_e32 v5, v15, v5
	s_wait_alu 0xfffd
	v_cndmask_b32_e32 v10, v12, v10, vcc_lo
	v_cmp_gt_i32_e32 vcc_lo, 1, v11
	s_wait_alu 0xfffd
	s_delay_alu instid0(VALU_DEP_2) | instskip(SKIP_2) | instid1(VALU_DEP_3)
	v_dual_cndmask_b32 v5, v13, v5 :: v_dual_and_b32 v12, 7, v10
	v_cmp_ne_u32_e32 vcc_lo, 0, v3
	v_lshrrev_b32_e32 v10, 2, v10
	v_cmp_eq_u32_e64 s0, 3, v12
	s_delay_alu instid0(VALU_DEP_4)
	v_and_b32_e32 v13, 7, v5
	s_wait_alu 0xfffd
	v_cndmask_b32_e64 v3, 0, 1, vcc_lo
	v_cmp_ne_u32_e32 vcc_lo, 0, v7
	v_lshrrev_b32_e32 v5, 2, v5
	v_cmp_lt_i32_e64 s1, 5, v13
	v_cmp_eq_u32_e64 s2, 3, v13
	s_wait_alu 0xfffd
	v_cndmask_b32_e64 v7, 0, 1, vcc_lo
	v_cmp_lt_i32_e32 vcc_lo, 5, v12
	v_lshl_or_b32 v3, v3, 9, 0x7c00
	s_delay_alu instid0(VALU_DEP_3)
	v_lshl_or_b32 v7, v7, 9, 0x7c00
	s_or_b32 vcc_lo, s0, vcc_lo
	s_wait_alu 0xfffe
	v_add_co_ci_u32_e32 v10, vcc_lo, 0, v10, vcc_lo
	s_or_b32 vcc_lo, s2, s1
	s_wait_alu 0xfffe
	v_add_co_ci_u32_e32 v5, vcc_lo, 0, v5, vcc_lo
	v_cmp_gt_i32_e32 vcc_lo, 31, v9
	s_wait_alu 0xfffd
	v_cndmask_b32_e32 v10, 0x7c00, v10, vcc_lo
	v_cmp_gt_i32_e32 vcc_lo, 31, v11
	s_wait_alu 0xfffd
	v_cndmask_b32_e32 v5, 0x7c00, v5, vcc_lo
	v_cmp_eq_u32_e32 vcc_lo, 0x40f, v9
	s_wait_alu 0xfffd
	v_cndmask_b32_e32 v3, v10, v3, vcc_lo
	v_cmp_eq_u32_e32 vcc_lo, 0x40f, v11
	s_delay_alu instid0(VALU_DEP_2)
	v_and_or_b32 v3, 0x8000, v6, v3
	s_wait_alu 0xfffd
	v_cndmask_b32_e32 v5, v5, v7, vcc_lo
	v_add_co_u32 v1, vcc_lo, v1, s4
	s_wait_alu 0xfffd
	v_add_co_ci_u32_e32 v2, vcc_lo, s5, v2, vcc_lo
	s_delay_alu instid0(VALU_DEP_3) | instskip(SKIP_1) | instid1(VALU_DEP_1)
	v_and_or_b32 v5, 0x8000, v8, v5
	v_and_b32_e32 v3, 0xffff, v3
	v_lshl_or_b32 v3, v5, 16, v3
	v_lshrrev_b32_e32 v5, 16, v4
	global_store_b32 v[1:2], v3, off
	global_load_b32 v3, v45, s[8:9] offset:1800
	s_wait_loadcnt 0x0
	v_lshrrev_b32_e32 v6, 16, v3
	s_delay_alu instid0(VALU_DEP_1) | instskip(SKIP_1) | instid1(VALU_DEP_2)
	v_mul_f16_e32 v7, v5, v6
	v_mul_f16_e32 v6, v4, v6
	v_fmac_f16_e32 v7, v4, v3
	s_delay_alu instid0(VALU_DEP_2) | instskip(NEXT) | instid1(VALU_DEP_2)
	v_fma_f16 v3, v3, v5, -v6
	v_cvt_f32_f16_e32 v4, v7
	s_delay_alu instid0(VALU_DEP_2) | instskip(NEXT) | instid1(VALU_DEP_2)
	v_cvt_f32_f16_e32 v5, v3
	v_cvt_f64_f32_e32 v[3:4], v4
	s_delay_alu instid0(VALU_DEP_2) | instskip(NEXT) | instid1(VALU_DEP_2)
	v_cvt_f64_f32_e32 v[5:6], v5
	v_mul_f64_e32 v[3:4], s[10:11], v[3:4]
	s_delay_alu instid0(VALU_DEP_2) | instskip(NEXT) | instid1(VALU_DEP_2)
	v_mul_f64_e32 v[5:6], s[10:11], v[5:6]
	v_and_or_b32 v3, 0x1ff, v4, v3
	s_delay_alu instid0(VALU_DEP_2)
	v_and_or_b32 v5, 0x1ff, v6, v5
	v_lshrrev_b32_e32 v7, 8, v4
	v_bfe_u32 v8, v4, 20, 11
	v_lshrrev_b32_e32 v9, 8, v6
	v_cmp_ne_u32_e32 vcc_lo, 0, v3
	v_bfe_u32 v10, v6, 20, 11
	v_lshrrev_b32_e32 v4, 16, v4
	v_sub_nc_u32_e32 v11, 0x3f1, v8
	v_add_nc_u32_e32 v8, 0xfffffc10, v8
	s_wait_alu 0xfffd
	v_cndmask_b32_e64 v3, 0, 1, vcc_lo
	v_cmp_ne_u32_e32 vcc_lo, 0, v5
	v_lshrrev_b32_e32 v6, 16, v6
	s_delay_alu instid0(VALU_DEP_3) | instskip(SKIP_4) | instid1(VALU_DEP_3)
	v_and_or_b32 v3, 0xffe, v7, v3
	s_wait_alu 0xfffd
	v_cndmask_b32_e64 v5, 0, 1, vcc_lo
	v_sub_nc_u32_e32 v7, 0x3f1, v10
	v_add_nc_u32_e32 v10, 0xfffffc10, v10
	v_and_or_b32 v5, 0xffe, v9, v5
	v_med3_i32 v9, v11, 0, 13
	v_or_b32_e32 v11, 0x1000, v3
	v_med3_i32 v7, v7, 0, 13
	s_delay_alu instid0(VALU_DEP_4) | instskip(NEXT) | instid1(VALU_DEP_3)
	v_or_b32_e32 v12, 0x1000, v5
	v_lshrrev_b32_e32 v13, v9, v11
	s_delay_alu instid0(VALU_DEP_2) | instskip(NEXT) | instid1(VALU_DEP_2)
	v_lshrrev_b32_e32 v14, v7, v12
	v_lshlrev_b32_e32 v9, v9, v13
	s_delay_alu instid0(VALU_DEP_2) | instskip(NEXT) | instid1(VALU_DEP_2)
	v_lshlrev_b32_e32 v7, v7, v14
	v_cmp_ne_u32_e32 vcc_lo, v9, v11
	v_lshl_or_b32 v11, v8, 12, v3
	s_wait_alu 0xfffd
	v_cndmask_b32_e64 v9, 0, 1, vcc_lo
	v_cmp_ne_u32_e32 vcc_lo, v7, v12
	v_lshl_or_b32 v12, v10, 12, v5
	s_delay_alu instid0(VALU_DEP_3) | instskip(SKIP_3) | instid1(VALU_DEP_2)
	v_or_b32_e32 v9, v13, v9
	s_wait_alu 0xfffd
	v_cndmask_b32_e64 v7, 0, 1, vcc_lo
	v_cmp_gt_i32_e32 vcc_lo, 1, v8
	v_or_b32_e32 v7, v14, v7
	s_wait_alu 0xfffd
	v_cndmask_b32_e32 v9, v11, v9, vcc_lo
	v_cmp_gt_i32_e32 vcc_lo, 1, v10
	s_delay_alu instid0(VALU_DEP_2)
	v_and_b32_e32 v11, 7, v9
	s_wait_alu 0xfffd
	v_cndmask_b32_e32 v7, v12, v7, vcc_lo
	v_cmp_ne_u32_e32 vcc_lo, 0, v3
	v_lshrrev_b32_e32 v9, 2, v9
	v_cmp_eq_u32_e64 s0, 3, v11
	s_delay_alu instid0(VALU_DEP_4)
	v_and_b32_e32 v12, 7, v7
	s_wait_alu 0xfffd
	v_cndmask_b32_e64 v3, 0, 1, vcc_lo
	v_cmp_ne_u32_e32 vcc_lo, 0, v5
	v_lshrrev_b32_e32 v7, 2, v7
	v_cmp_lt_i32_e64 s1, 5, v12
	v_cmp_eq_u32_e64 s2, 3, v12
	s_wait_alu 0xfffd
	v_cndmask_b32_e64 v5, 0, 1, vcc_lo
	v_cmp_lt_i32_e32 vcc_lo, 5, v11
	v_lshl_or_b32 v3, v3, 9, 0x7c00
	s_delay_alu instid0(VALU_DEP_3)
	v_lshl_or_b32 v5, v5, 9, 0x7c00
	s_or_b32 vcc_lo, s0, vcc_lo
	s_wait_alu 0xfffe
	v_add_co_ci_u32_e32 v9, vcc_lo, 0, v9, vcc_lo
	s_or_b32 vcc_lo, s2, s1
	s_wait_alu 0xfffe
	v_add_co_ci_u32_e32 v7, vcc_lo, 0, v7, vcc_lo
	v_cmp_gt_i32_e32 vcc_lo, 31, v8
	s_wait_alu 0xfffd
	v_cndmask_b32_e32 v9, 0x7c00, v9, vcc_lo
	v_cmp_gt_i32_e32 vcc_lo, 31, v10
	s_wait_alu 0xfffd
	v_cndmask_b32_e32 v7, 0x7c00, v7, vcc_lo
	v_cmp_eq_u32_e32 vcc_lo, 0x40f, v8
	s_wait_alu 0xfffd
	v_cndmask_b32_e32 v3, v9, v3, vcc_lo
	v_cmp_eq_u32_e32 vcc_lo, 0x40f, v10
	s_delay_alu instid0(VALU_DEP_2)
	v_and_or_b32 v3, 0x8000, v4, v3
	s_wait_alu 0xfffd
	v_cndmask_b32_e32 v5, v7, v5, vcc_lo
	v_add_co_u32 v1, vcc_lo, v1, s4
	s_wait_alu 0xfffd
	v_add_co_ci_u32_e32 v2, vcc_lo, s5, v2, vcc_lo
	s_delay_alu instid0(VALU_DEP_3) | instskip(SKIP_1) | instid1(VALU_DEP_1)
	v_and_or_b32 v4, 0x8000, v6, v5
	v_and_b32_e32 v3, 0xffff, v3
	v_lshl_or_b32 v3, v4, 16, v3
	global_store_b32 v[1:2], v3, off
	global_load_b32 v5, v45, s[8:9] offset:1980
	v_add_nc_u32_e32 v3, 0x600, v0
	ds_load_2addr_b32 v[3:4], v3 offset0:111 offset1:156
	s_wait_dscnt 0x0
	v_lshrrev_b32_e32 v6, 16, v3
	s_wait_loadcnt 0x0
	v_lshrrev_b32_e32 v7, 16, v5
	s_delay_alu instid0(VALU_DEP_1) | instskip(SKIP_1) | instid1(VALU_DEP_2)
	v_mul_f16_e32 v8, v6, v7
	v_mul_f16_e32 v7, v3, v7
	v_fmac_f16_e32 v8, v3, v5
	s_delay_alu instid0(VALU_DEP_2) | instskip(NEXT) | instid1(VALU_DEP_2)
	v_fma_f16 v3, v5, v6, -v7
	v_cvt_f32_f16_e32 v5, v8
	s_delay_alu instid0(VALU_DEP_2) | instskip(NEXT) | instid1(VALU_DEP_2)
	v_cvt_f32_f16_e32 v3, v3
	v_cvt_f64_f32_e32 v[5:6], v5
	s_delay_alu instid0(VALU_DEP_2) | instskip(NEXT) | instid1(VALU_DEP_2)
	v_cvt_f64_f32_e32 v[7:8], v3
	v_mul_f64_e32 v[5:6], s[10:11], v[5:6]
	s_delay_alu instid0(VALU_DEP_2) | instskip(NEXT) | instid1(VALU_DEP_2)
	v_mul_f64_e32 v[7:8], s[10:11], v[7:8]
	v_and_or_b32 v3, 0x1ff, v6, v5
	s_delay_alu instid0(VALU_DEP_2)
	v_and_or_b32 v7, 0x1ff, v8, v7
	v_lshrrev_b32_e32 v5, 8, v6
	v_bfe_u32 v9, v6, 20, 11
	v_lshrrev_b32_e32 v10, 8, v8
	v_cmp_ne_u32_e32 vcc_lo, 0, v3
	v_bfe_u32 v11, v8, 20, 11
	v_lshrrev_b32_e32 v6, 16, v6
	v_sub_nc_u32_e32 v12, 0x3f1, v9
	v_add_nc_u32_e32 v9, 0xfffffc10, v9
	s_wait_alu 0xfffd
	v_cndmask_b32_e64 v3, 0, 1, vcc_lo
	v_cmp_ne_u32_e32 vcc_lo, 0, v7
	v_lshrrev_b32_e32 v8, 16, v8
	s_delay_alu instid0(VALU_DEP_3) | instskip(SKIP_4) | instid1(VALU_DEP_3)
	v_and_or_b32 v3, 0xffe, v5, v3
	s_wait_alu 0xfffd
	v_cndmask_b32_e64 v7, 0, 1, vcc_lo
	v_sub_nc_u32_e32 v5, 0x3f1, v11
	v_add_nc_u32_e32 v11, 0xfffffc10, v11
	v_and_or_b32 v7, 0xffe, v10, v7
	v_med3_i32 v10, v12, 0, 13
	v_or_b32_e32 v12, 0x1000, v3
	v_med3_i32 v5, v5, 0, 13
	s_delay_alu instid0(VALU_DEP_4) | instskip(NEXT) | instid1(VALU_DEP_3)
	v_or_b32_e32 v13, 0x1000, v7
	v_lshrrev_b32_e32 v14, v10, v12
	s_delay_alu instid0(VALU_DEP_2) | instskip(NEXT) | instid1(VALU_DEP_2)
	v_lshrrev_b32_e32 v15, v5, v13
	v_lshlrev_b32_e32 v10, v10, v14
	s_delay_alu instid0(VALU_DEP_2) | instskip(NEXT) | instid1(VALU_DEP_2)
	v_lshlrev_b32_e32 v5, v5, v15
	v_cmp_ne_u32_e32 vcc_lo, v10, v12
	v_lshl_or_b32 v12, v9, 12, v3
	s_wait_alu 0xfffd
	v_cndmask_b32_e64 v10, 0, 1, vcc_lo
	v_cmp_ne_u32_e32 vcc_lo, v5, v13
	v_lshl_or_b32 v13, v11, 12, v7
	s_delay_alu instid0(VALU_DEP_3) | instskip(SKIP_3) | instid1(VALU_DEP_2)
	v_or_b32_e32 v10, v14, v10
	s_wait_alu 0xfffd
	v_cndmask_b32_e64 v5, 0, 1, vcc_lo
	v_cmp_gt_i32_e32 vcc_lo, 1, v9
	v_or_b32_e32 v5, v15, v5
	s_wait_alu 0xfffd
	v_cndmask_b32_e32 v10, v12, v10, vcc_lo
	v_cmp_gt_i32_e32 vcc_lo, 1, v11
	s_wait_alu 0xfffd
	s_delay_alu instid0(VALU_DEP_2) | instskip(SKIP_2) | instid1(VALU_DEP_3)
	v_dual_cndmask_b32 v5, v13, v5 :: v_dual_and_b32 v12, 7, v10
	v_cmp_ne_u32_e32 vcc_lo, 0, v3
	v_lshrrev_b32_e32 v10, 2, v10
	v_cmp_eq_u32_e64 s0, 3, v12
	s_delay_alu instid0(VALU_DEP_4)
	v_and_b32_e32 v13, 7, v5
	s_wait_alu 0xfffd
	v_cndmask_b32_e64 v3, 0, 1, vcc_lo
	v_cmp_ne_u32_e32 vcc_lo, 0, v7
	v_lshrrev_b32_e32 v5, 2, v5
	v_cmp_lt_i32_e64 s1, 5, v13
	v_cmp_eq_u32_e64 s2, 3, v13
	s_wait_alu 0xfffd
	v_cndmask_b32_e64 v7, 0, 1, vcc_lo
	v_cmp_lt_i32_e32 vcc_lo, 5, v12
	v_lshl_or_b32 v3, v3, 9, 0x7c00
	s_delay_alu instid0(VALU_DEP_3)
	v_lshl_or_b32 v7, v7, 9, 0x7c00
	s_or_b32 vcc_lo, s0, vcc_lo
	s_wait_alu 0xfffe
	v_add_co_ci_u32_e32 v10, vcc_lo, 0, v10, vcc_lo
	s_or_b32 vcc_lo, s2, s1
	s_wait_alu 0xfffe
	v_add_co_ci_u32_e32 v5, vcc_lo, 0, v5, vcc_lo
	v_cmp_gt_i32_e32 vcc_lo, 31, v9
	s_wait_alu 0xfffd
	v_cndmask_b32_e32 v10, 0x7c00, v10, vcc_lo
	v_cmp_gt_i32_e32 vcc_lo, 31, v11
	s_wait_alu 0xfffd
	v_cndmask_b32_e32 v5, 0x7c00, v5, vcc_lo
	v_cmp_eq_u32_e32 vcc_lo, 0x40f, v9
	s_wait_alu 0xfffd
	v_cndmask_b32_e32 v3, v10, v3, vcc_lo
	v_cmp_eq_u32_e32 vcc_lo, 0x40f, v11
	s_delay_alu instid0(VALU_DEP_2)
	v_and_or_b32 v3, 0x8000, v6, v3
	s_wait_alu 0xfffd
	v_cndmask_b32_e32 v5, v5, v7, vcc_lo
	v_add_co_u32 v1, vcc_lo, v1, s4
	s_wait_alu 0xfffd
	v_add_co_ci_u32_e32 v2, vcc_lo, s5, v2, vcc_lo
	s_delay_alu instid0(VALU_DEP_3) | instskip(SKIP_1) | instid1(VALU_DEP_1)
	v_and_or_b32 v5, 0x8000, v8, v5
	v_and_b32_e32 v3, 0xffff, v3
	v_lshl_or_b32 v3, v5, 16, v3
	v_lshrrev_b32_e32 v5, 16, v4
	global_store_b32 v[1:2], v3, off
	global_load_b32 v3, v45, s[8:9] offset:2160
	s_wait_loadcnt 0x0
	v_lshrrev_b32_e32 v6, 16, v3
	s_delay_alu instid0(VALU_DEP_1) | instskip(SKIP_1) | instid1(VALU_DEP_2)
	v_mul_f16_e32 v7, v5, v6
	v_mul_f16_e32 v6, v4, v6
	v_fmac_f16_e32 v7, v4, v3
	s_delay_alu instid0(VALU_DEP_2) | instskip(NEXT) | instid1(VALU_DEP_2)
	v_fma_f16 v3, v3, v5, -v6
	v_cvt_f32_f16_e32 v4, v7
	s_delay_alu instid0(VALU_DEP_2) | instskip(NEXT) | instid1(VALU_DEP_2)
	v_cvt_f32_f16_e32 v5, v3
	v_cvt_f64_f32_e32 v[3:4], v4
	s_delay_alu instid0(VALU_DEP_2) | instskip(NEXT) | instid1(VALU_DEP_2)
	v_cvt_f64_f32_e32 v[5:6], v5
	v_mul_f64_e32 v[3:4], s[10:11], v[3:4]
	s_delay_alu instid0(VALU_DEP_2) | instskip(NEXT) | instid1(VALU_DEP_2)
	v_mul_f64_e32 v[5:6], s[10:11], v[5:6]
	v_and_or_b32 v3, 0x1ff, v4, v3
	s_delay_alu instid0(VALU_DEP_2)
	v_and_or_b32 v5, 0x1ff, v6, v5
	v_lshrrev_b32_e32 v7, 8, v4
	v_bfe_u32 v8, v4, 20, 11
	v_lshrrev_b32_e32 v9, 8, v6
	v_cmp_ne_u32_e32 vcc_lo, 0, v3
	v_bfe_u32 v10, v6, 20, 11
	v_lshrrev_b32_e32 v4, 16, v4
	v_sub_nc_u32_e32 v11, 0x3f1, v8
	v_add_nc_u32_e32 v8, 0xfffffc10, v8
	s_wait_alu 0xfffd
	v_cndmask_b32_e64 v3, 0, 1, vcc_lo
	v_cmp_ne_u32_e32 vcc_lo, 0, v5
	v_lshrrev_b32_e32 v6, 16, v6
	s_delay_alu instid0(VALU_DEP_3) | instskip(SKIP_4) | instid1(VALU_DEP_3)
	v_and_or_b32 v3, 0xffe, v7, v3
	s_wait_alu 0xfffd
	v_cndmask_b32_e64 v5, 0, 1, vcc_lo
	v_sub_nc_u32_e32 v7, 0x3f1, v10
	v_add_nc_u32_e32 v10, 0xfffffc10, v10
	v_and_or_b32 v5, 0xffe, v9, v5
	v_med3_i32 v9, v11, 0, 13
	v_or_b32_e32 v11, 0x1000, v3
	v_med3_i32 v7, v7, 0, 13
	s_delay_alu instid0(VALU_DEP_4) | instskip(NEXT) | instid1(VALU_DEP_3)
	v_or_b32_e32 v12, 0x1000, v5
	v_lshrrev_b32_e32 v13, v9, v11
	s_delay_alu instid0(VALU_DEP_2) | instskip(NEXT) | instid1(VALU_DEP_2)
	v_lshrrev_b32_e32 v14, v7, v12
	v_lshlrev_b32_e32 v9, v9, v13
	s_delay_alu instid0(VALU_DEP_2) | instskip(NEXT) | instid1(VALU_DEP_2)
	v_lshlrev_b32_e32 v7, v7, v14
	v_cmp_ne_u32_e32 vcc_lo, v9, v11
	v_lshl_or_b32 v11, v8, 12, v3
	s_wait_alu 0xfffd
	v_cndmask_b32_e64 v9, 0, 1, vcc_lo
	v_cmp_ne_u32_e32 vcc_lo, v7, v12
	v_lshl_or_b32 v12, v10, 12, v5
	s_delay_alu instid0(VALU_DEP_3) | instskip(SKIP_3) | instid1(VALU_DEP_2)
	v_or_b32_e32 v9, v13, v9
	s_wait_alu 0xfffd
	v_cndmask_b32_e64 v7, 0, 1, vcc_lo
	v_cmp_gt_i32_e32 vcc_lo, 1, v8
	v_or_b32_e32 v7, v14, v7
	s_wait_alu 0xfffd
	v_cndmask_b32_e32 v9, v11, v9, vcc_lo
	v_cmp_gt_i32_e32 vcc_lo, 1, v10
	s_delay_alu instid0(VALU_DEP_2)
	v_and_b32_e32 v11, 7, v9
	s_wait_alu 0xfffd
	v_cndmask_b32_e32 v7, v12, v7, vcc_lo
	v_cmp_ne_u32_e32 vcc_lo, 0, v3
	v_lshrrev_b32_e32 v9, 2, v9
	v_cmp_eq_u32_e64 s0, 3, v11
	s_delay_alu instid0(VALU_DEP_4)
	v_and_b32_e32 v12, 7, v7
	s_wait_alu 0xfffd
	v_cndmask_b32_e64 v3, 0, 1, vcc_lo
	v_cmp_ne_u32_e32 vcc_lo, 0, v5
	v_lshrrev_b32_e32 v7, 2, v7
	v_cmp_lt_i32_e64 s1, 5, v12
	v_cmp_eq_u32_e64 s2, 3, v12
	s_wait_alu 0xfffd
	v_cndmask_b32_e64 v5, 0, 1, vcc_lo
	v_cmp_lt_i32_e32 vcc_lo, 5, v11
	v_lshl_or_b32 v3, v3, 9, 0x7c00
	s_delay_alu instid0(VALU_DEP_3)
	v_lshl_or_b32 v5, v5, 9, 0x7c00
	s_or_b32 vcc_lo, s0, vcc_lo
	s_wait_alu 0xfffe
	v_add_co_ci_u32_e32 v9, vcc_lo, 0, v9, vcc_lo
	s_or_b32 vcc_lo, s2, s1
	s_wait_alu 0xfffe
	v_add_co_ci_u32_e32 v7, vcc_lo, 0, v7, vcc_lo
	v_cmp_gt_i32_e32 vcc_lo, 31, v8
	s_wait_alu 0xfffd
	v_cndmask_b32_e32 v9, 0x7c00, v9, vcc_lo
	v_cmp_gt_i32_e32 vcc_lo, 31, v10
	s_wait_alu 0xfffd
	v_cndmask_b32_e32 v7, 0x7c00, v7, vcc_lo
	v_cmp_eq_u32_e32 vcc_lo, 0x40f, v8
	s_wait_alu 0xfffd
	v_cndmask_b32_e32 v3, v9, v3, vcc_lo
	v_cmp_eq_u32_e32 vcc_lo, 0x40f, v10
	v_add_nc_u32_e32 v9, 0x800, v0
	s_delay_alu instid0(VALU_DEP_3)
	v_and_or_b32 v3, 0x8000, v4, v3
	s_wait_alu 0xfffd
	v_cndmask_b32_e32 v5, v7, v5, vcc_lo
	v_add_co_u32 v1, vcc_lo, v1, s4
	s_wait_alu 0xfffd
	v_add_co_ci_u32_e32 v2, vcc_lo, s5, v2, vcc_lo
	s_delay_alu instid0(VALU_DEP_3) | instskip(SKIP_1) | instid1(VALU_DEP_1)
	v_and_or_b32 v4, 0x8000, v6, v5
	v_and_b32_e32 v3, 0xffff, v3
	v_lshl_or_b32 v3, v4, 16, v3
	global_store_b32 v[1:2], v3, off
	global_load_b32 v5, v45, s[8:9] offset:2340
	ds_load_2addr_b32 v[3:4], v9 offset0:73 offset1:118
	s_wait_dscnt 0x0
	v_lshrrev_b32_e32 v0, 16, v3
	s_wait_loadcnt 0x0
	v_lshrrev_b32_e32 v6, 16, v5
	s_delay_alu instid0(VALU_DEP_1) | instskip(SKIP_1) | instid1(VALU_DEP_2)
	v_mul_f16_e32 v7, v0, v6
	v_mul_f16_e32 v6, v3, v6
	v_fmac_f16_e32 v7, v3, v5
	s_delay_alu instid0(VALU_DEP_2) | instskip(NEXT) | instid1(VALU_DEP_2)
	v_fma_f16 v0, v5, v0, -v6
	v_cvt_f32_f16_e32 v3, v7
	s_delay_alu instid0(VALU_DEP_2) | instskip(NEXT) | instid1(VALU_DEP_2)
	v_cvt_f32_f16_e32 v0, v0
	v_cvt_f64_f32_e32 v[5:6], v3
	s_delay_alu instid0(VALU_DEP_2) | instskip(NEXT) | instid1(VALU_DEP_2)
	v_cvt_f64_f32_e32 v[7:8], v0
	v_mul_f64_e32 v[5:6], s[10:11], v[5:6]
	s_delay_alu instid0(VALU_DEP_2) | instskip(NEXT) | instid1(VALU_DEP_2)
	v_mul_f64_e32 v[7:8], s[10:11], v[7:8]
	v_and_or_b32 v0, 0x1ff, v6, v5
	s_delay_alu instid0(VALU_DEP_2)
	v_and_or_b32 v7, 0x1ff, v8, v7
	v_lshrrev_b32_e32 v3, 8, v6
	v_bfe_u32 v5, v6, 20, 11
	v_lshrrev_b32_e32 v10, 8, v8
	v_cmp_ne_u32_e32 vcc_lo, 0, v0
	v_bfe_u32 v11, v8, 20, 11
	v_lshrrev_b32_e32 v6, 16, v6
	v_sub_nc_u32_e32 v12, 0x3f1, v5
	v_add_nc_u32_e32 v5, 0xfffffc10, v5
	s_wait_alu 0xfffd
	v_cndmask_b32_e64 v0, 0, 1, vcc_lo
	v_cmp_ne_u32_e32 vcc_lo, 0, v7
	s_delay_alu instid0(VALU_DEP_2) | instskip(SKIP_4) | instid1(VALU_DEP_3)
	v_and_or_b32 v0, 0xffe, v3, v0
	s_wait_alu 0xfffd
	v_cndmask_b32_e64 v7, 0, 1, vcc_lo
	v_sub_nc_u32_e32 v3, 0x3f1, v11
	v_add_nc_u32_e32 v11, 0xfffffc10, v11
	v_and_or_b32 v7, 0xffe, v10, v7
	v_med3_i32 v10, v12, 0, 13
	v_or_b32_e32 v12, 0x1000, v0
	v_med3_i32 v3, v3, 0, 13
	s_delay_alu instid0(VALU_DEP_4) | instskip(NEXT) | instid1(VALU_DEP_3)
	v_or_b32_e32 v13, 0x1000, v7
	v_lshrrev_b32_e32 v14, v10, v12
	s_delay_alu instid0(VALU_DEP_2) | instskip(NEXT) | instid1(VALU_DEP_2)
	v_lshrrev_b32_e32 v15, v3, v13
	v_lshlrev_b32_e32 v10, v10, v14
	s_delay_alu instid0(VALU_DEP_2) | instskip(NEXT) | instid1(VALU_DEP_2)
	v_lshlrev_b32_e32 v3, v3, v15
	v_cmp_ne_u32_e32 vcc_lo, v10, v12
	v_lshl_or_b32 v12, v5, 12, v0
	s_wait_alu 0xfffd
	v_cndmask_b32_e64 v10, 0, 1, vcc_lo
	v_cmp_ne_u32_e32 vcc_lo, v3, v13
	v_lshl_or_b32 v13, v11, 12, v7
	s_delay_alu instid0(VALU_DEP_3) | instskip(SKIP_3) | instid1(VALU_DEP_2)
	v_or_b32_e32 v10, v14, v10
	s_wait_alu 0xfffd
	v_cndmask_b32_e64 v3, 0, 1, vcc_lo
	v_cmp_gt_i32_e32 vcc_lo, 1, v5
	v_or_b32_e32 v3, v15, v3
	s_wait_alu 0xfffd
	v_cndmask_b32_e32 v10, v12, v10, vcc_lo
	v_cmp_gt_i32_e32 vcc_lo, 1, v11
	s_wait_alu 0xfffd
	s_delay_alu instid0(VALU_DEP_2) | instskip(SKIP_2) | instid1(VALU_DEP_3)
	v_dual_cndmask_b32 v3, v13, v3 :: v_dual_and_b32 v12, 7, v10
	v_cmp_ne_u32_e32 vcc_lo, 0, v0
	v_lshrrev_b32_e32 v10, 2, v10
	v_cmp_eq_u32_e64 s0, 3, v12
	s_delay_alu instid0(VALU_DEP_4)
	v_and_b32_e32 v13, 7, v3
	s_wait_alu 0xfffd
	v_cndmask_b32_e64 v0, 0, 1, vcc_lo
	v_cmp_ne_u32_e32 vcc_lo, 0, v7
	v_lshrrev_b32_e32 v3, 2, v3
	v_cmp_lt_i32_e64 s1, 5, v13
	v_cmp_eq_u32_e64 s2, 3, v13
	s_wait_alu 0xfffd
	v_cndmask_b32_e64 v7, 0, 1, vcc_lo
	v_cmp_lt_i32_e32 vcc_lo, 5, v12
	v_lshl_or_b32 v0, v0, 9, 0x7c00
	s_delay_alu instid0(VALU_DEP_3)
	v_lshl_or_b32 v7, v7, 9, 0x7c00
	s_or_b32 vcc_lo, s0, vcc_lo
	s_wait_alu 0xfffe
	v_add_co_ci_u32_e32 v10, vcc_lo, 0, v10, vcc_lo
	s_or_b32 vcc_lo, s2, s1
	s_wait_alu 0xfffe
	v_add_co_ci_u32_e32 v3, vcc_lo, 0, v3, vcc_lo
	v_cmp_gt_i32_e32 vcc_lo, 31, v5
	s_wait_alu 0xfffd
	v_cndmask_b32_e32 v10, 0x7c00, v10, vcc_lo
	v_cmp_gt_i32_e32 vcc_lo, 31, v11
	s_wait_alu 0xfffd
	v_cndmask_b32_e32 v3, 0x7c00, v3, vcc_lo
	v_cmp_eq_u32_e32 vcc_lo, 0x40f, v5
	v_lshrrev_b32_e32 v5, 16, v8
	s_wait_alu 0xfffd
	v_cndmask_b32_e32 v0, v10, v0, vcc_lo
	v_cmp_eq_u32_e32 vcc_lo, 0x40f, v11
	s_delay_alu instid0(VALU_DEP_2) | instskip(SKIP_2) | instid1(VALU_DEP_1)
	v_and_or_b32 v0, 0x8000, v6, v0
	s_wait_alu 0xfffd
	v_cndmask_b32_e32 v3, v3, v7, vcc_lo
	v_and_or_b32 v3, 0x8000, v5, v3
	s_delay_alu instid0(VALU_DEP_3) | instskip(SKIP_3) | instid1(VALU_DEP_3)
	v_and_b32_e32 v5, 0xffff, v0
	v_add_co_u32 v0, vcc_lo, v1, s4
	s_wait_alu 0xfffd
	v_add_co_ci_u32_e32 v1, vcc_lo, s5, v2, vcc_lo
	v_lshl_or_b32 v2, v3, 16, v5
	v_lshrrev_b32_e32 v3, 16, v4
	global_store_b32 v[0:1], v2, off
	global_load_b32 v2, v45, s[8:9] offset:2520
	s_wait_loadcnt 0x0
	v_lshrrev_b32_e32 v5, 16, v2
	s_delay_alu instid0(VALU_DEP_1) | instskip(SKIP_1) | instid1(VALU_DEP_2)
	v_mul_f16_e32 v6, v3, v5
	v_mul_f16_e32 v5, v4, v5
	v_fmac_f16_e32 v6, v4, v2
	s_delay_alu instid0(VALU_DEP_2) | instskip(NEXT) | instid1(VALU_DEP_2)
	v_fma_f16 v2, v2, v3, -v5
	v_cvt_f32_f16_e32 v3, v6
	s_delay_alu instid0(VALU_DEP_2) | instskip(NEXT) | instid1(VALU_DEP_2)
	v_cvt_f32_f16_e32 v4, v2
	v_cvt_f64_f32_e32 v[2:3], v3
	s_delay_alu instid0(VALU_DEP_2) | instskip(NEXT) | instid1(VALU_DEP_2)
	v_cvt_f64_f32_e32 v[4:5], v4
	v_mul_f64_e32 v[2:3], s[10:11], v[2:3]
	s_delay_alu instid0(VALU_DEP_2) | instskip(NEXT) | instid1(VALU_DEP_2)
	v_mul_f64_e32 v[4:5], s[10:11], v[4:5]
	v_and_or_b32 v2, 0x1ff, v3, v2
	s_delay_alu instid0(VALU_DEP_2)
	v_and_or_b32 v4, 0x1ff, v5, v4
	v_lshrrev_b32_e32 v6, 8, v3
	v_bfe_u32 v7, v3, 20, 11
	v_lshrrev_b32_e32 v8, 8, v5
	v_cmp_ne_u32_e32 vcc_lo, 0, v2
	v_bfe_u32 v10, v5, 20, 11
	v_lshrrev_b32_e32 v3, 16, v3
	v_sub_nc_u32_e32 v11, 0x3f1, v7
	v_add_nc_u32_e32 v7, 0xfffffc10, v7
	s_wait_alu 0xfffd
	v_cndmask_b32_e64 v2, 0, 1, vcc_lo
	v_cmp_ne_u32_e32 vcc_lo, 0, v4
	v_lshrrev_b32_e32 v5, 16, v5
	s_delay_alu instid0(VALU_DEP_3) | instskip(SKIP_4) | instid1(VALU_DEP_3)
	v_and_or_b32 v2, 0xffe, v6, v2
	s_wait_alu 0xfffd
	v_cndmask_b32_e64 v4, 0, 1, vcc_lo
	v_sub_nc_u32_e32 v6, 0x3f1, v10
	v_add_nc_u32_e32 v10, 0xfffffc10, v10
	v_and_or_b32 v4, 0xffe, v8, v4
	v_med3_i32 v8, v11, 0, 13
	v_or_b32_e32 v11, 0x1000, v2
	v_med3_i32 v6, v6, 0, 13
	s_delay_alu instid0(VALU_DEP_4) | instskip(NEXT) | instid1(VALU_DEP_3)
	v_or_b32_e32 v12, 0x1000, v4
	v_lshrrev_b32_e32 v13, v8, v11
	s_delay_alu instid0(VALU_DEP_2) | instskip(NEXT) | instid1(VALU_DEP_2)
	v_lshrrev_b32_e32 v14, v6, v12
	v_lshlrev_b32_e32 v8, v8, v13
	s_delay_alu instid0(VALU_DEP_2) | instskip(NEXT) | instid1(VALU_DEP_2)
	v_lshlrev_b32_e32 v6, v6, v14
	v_cmp_ne_u32_e32 vcc_lo, v8, v11
	v_lshl_or_b32 v11, v7, 12, v2
	s_wait_alu 0xfffd
	v_cndmask_b32_e64 v8, 0, 1, vcc_lo
	v_cmp_ne_u32_e32 vcc_lo, v6, v12
	v_lshl_or_b32 v12, v10, 12, v4
	s_delay_alu instid0(VALU_DEP_3) | instskip(SKIP_3) | instid1(VALU_DEP_2)
	v_or_b32_e32 v8, v13, v8
	s_wait_alu 0xfffd
	v_cndmask_b32_e64 v6, 0, 1, vcc_lo
	v_cmp_gt_i32_e32 vcc_lo, 1, v7
	v_or_b32_e32 v6, v14, v6
	s_wait_alu 0xfffd
	v_cndmask_b32_e32 v8, v11, v8, vcc_lo
	v_cmp_gt_i32_e32 vcc_lo, 1, v10
	s_wait_alu 0xfffd
	s_delay_alu instid0(VALU_DEP_2) | instskip(SKIP_2) | instid1(VALU_DEP_3)
	v_dual_cndmask_b32 v6, v12, v6 :: v_dual_and_b32 v11, 7, v8
	v_cmp_ne_u32_e32 vcc_lo, 0, v2
	v_lshrrev_b32_e32 v8, 2, v8
	v_cmp_eq_u32_e64 s0, 3, v11
	s_delay_alu instid0(VALU_DEP_4)
	v_and_b32_e32 v12, 7, v6
	s_wait_alu 0xfffd
	v_cndmask_b32_e64 v2, 0, 1, vcc_lo
	v_cmp_ne_u32_e32 vcc_lo, 0, v4
	v_lshrrev_b32_e32 v6, 2, v6
	v_cmp_lt_i32_e64 s1, 5, v12
	v_cmp_eq_u32_e64 s2, 3, v12
	s_wait_alu 0xfffd
	v_cndmask_b32_e64 v4, 0, 1, vcc_lo
	v_cmp_lt_i32_e32 vcc_lo, 5, v11
	v_lshl_or_b32 v2, v2, 9, 0x7c00
	s_delay_alu instid0(VALU_DEP_3)
	v_lshl_or_b32 v4, v4, 9, 0x7c00
	s_or_b32 vcc_lo, s0, vcc_lo
	s_wait_alu 0xfffe
	v_add_co_ci_u32_e32 v8, vcc_lo, 0, v8, vcc_lo
	s_or_b32 vcc_lo, s2, s1
	s_wait_alu 0xfffe
	v_add_co_ci_u32_e32 v6, vcc_lo, 0, v6, vcc_lo
	v_cmp_gt_i32_e32 vcc_lo, 31, v7
	s_wait_alu 0xfffd
	v_cndmask_b32_e32 v8, 0x7c00, v8, vcc_lo
	v_cmp_gt_i32_e32 vcc_lo, 31, v10
	s_wait_alu 0xfffd
	v_cndmask_b32_e32 v6, 0x7c00, v6, vcc_lo
	v_cmp_eq_u32_e32 vcc_lo, 0x40f, v7
	s_wait_alu 0xfffd
	v_cndmask_b32_e32 v2, v8, v2, vcc_lo
	v_cmp_eq_u32_e32 vcc_lo, 0x40f, v10
	s_delay_alu instid0(VALU_DEP_2)
	v_and_or_b32 v2, 0x8000, v3, v2
	s_wait_alu 0xfffd
	v_cndmask_b32_e32 v4, v6, v4, vcc_lo
	v_add_co_u32 v0, vcc_lo, v0, s4
	s_wait_alu 0xfffd
	v_add_co_ci_u32_e32 v1, vcc_lo, s5, v1, vcc_lo
	s_delay_alu instid0(VALU_DEP_3) | instskip(SKIP_1) | instid1(VALU_DEP_1)
	v_and_or_b32 v3, 0x8000, v5, v4
	v_and_b32_e32 v2, 0xffff, v2
	v_lshl_or_b32 v2, v3, 16, v2
	global_store_b32 v[0:1], v2, off
	global_load_b32 v4, v45, s[8:9] offset:2700
	ds_load_2addr_b32 v[2:3], v9 offset0:163 offset1:208
	s_wait_dscnt 0x0
	v_lshrrev_b32_e32 v5, 16, v2
	s_wait_loadcnt 0x0
	v_lshrrev_b32_e32 v6, 16, v4
	s_delay_alu instid0(VALU_DEP_1) | instskip(SKIP_1) | instid1(VALU_DEP_2)
	v_mul_f16_e32 v7, v5, v6
	v_mul_f16_e32 v6, v2, v6
	v_fmac_f16_e32 v7, v2, v4
	s_delay_alu instid0(VALU_DEP_2) | instskip(NEXT) | instid1(VALU_DEP_2)
	v_fma_f16 v2, v4, v5, -v6
	v_cvt_f32_f16_e32 v4, v7
	s_delay_alu instid0(VALU_DEP_2) | instskip(NEXT) | instid1(VALU_DEP_2)
	v_cvt_f32_f16_e32 v2, v2
	v_cvt_f64_f32_e32 v[4:5], v4
	s_delay_alu instid0(VALU_DEP_2) | instskip(NEXT) | instid1(VALU_DEP_2)
	v_cvt_f64_f32_e32 v[6:7], v2
	v_mul_f64_e32 v[4:5], s[10:11], v[4:5]
	s_delay_alu instid0(VALU_DEP_2) | instskip(NEXT) | instid1(VALU_DEP_2)
	v_mul_f64_e32 v[6:7], s[10:11], v[6:7]
	v_and_or_b32 v2, 0x1ff, v5, v4
	s_delay_alu instid0(VALU_DEP_2)
	v_and_or_b32 v6, 0x1ff, v7, v6
	v_lshrrev_b32_e32 v4, 8, v5
	v_bfe_u32 v8, v5, 20, 11
	v_lshrrev_b32_e32 v9, 8, v7
	v_cmp_ne_u32_e32 vcc_lo, 0, v2
	v_bfe_u32 v10, v7, 20, 11
	v_lshrrev_b32_e32 v5, 16, v5
	v_sub_nc_u32_e32 v11, 0x3f1, v8
	v_add_nc_u32_e32 v8, 0xfffffc10, v8
	s_wait_alu 0xfffd
	v_cndmask_b32_e64 v2, 0, 1, vcc_lo
	v_cmp_ne_u32_e32 vcc_lo, 0, v6
	v_lshrrev_b32_e32 v7, 16, v7
	s_delay_alu instid0(VALU_DEP_3) | instskip(SKIP_4) | instid1(VALU_DEP_3)
	v_and_or_b32 v2, 0xffe, v4, v2
	s_wait_alu 0xfffd
	v_cndmask_b32_e64 v6, 0, 1, vcc_lo
	v_sub_nc_u32_e32 v4, 0x3f1, v10
	v_add_nc_u32_e32 v10, 0xfffffc10, v10
	v_and_or_b32 v6, 0xffe, v9, v6
	v_med3_i32 v9, v11, 0, 13
	v_or_b32_e32 v11, 0x1000, v2
	v_med3_i32 v4, v4, 0, 13
	s_delay_alu instid0(VALU_DEP_4) | instskip(NEXT) | instid1(VALU_DEP_3)
	v_or_b32_e32 v12, 0x1000, v6
	v_lshrrev_b32_e32 v13, v9, v11
	s_delay_alu instid0(VALU_DEP_2) | instskip(NEXT) | instid1(VALU_DEP_2)
	v_lshrrev_b32_e32 v14, v4, v12
	v_lshlrev_b32_e32 v9, v9, v13
	s_delay_alu instid0(VALU_DEP_2) | instskip(NEXT) | instid1(VALU_DEP_2)
	v_lshlrev_b32_e32 v4, v4, v14
	v_cmp_ne_u32_e32 vcc_lo, v9, v11
	v_lshl_or_b32 v11, v8, 12, v2
	s_wait_alu 0xfffd
	v_cndmask_b32_e64 v9, 0, 1, vcc_lo
	v_cmp_ne_u32_e32 vcc_lo, v4, v12
	v_lshl_or_b32 v12, v10, 12, v6
	s_delay_alu instid0(VALU_DEP_3) | instskip(SKIP_3) | instid1(VALU_DEP_2)
	v_or_b32_e32 v9, v13, v9
	s_wait_alu 0xfffd
	v_cndmask_b32_e64 v4, 0, 1, vcc_lo
	v_cmp_gt_i32_e32 vcc_lo, 1, v8
	v_or_b32_e32 v4, v14, v4
	s_wait_alu 0xfffd
	v_cndmask_b32_e32 v9, v11, v9, vcc_lo
	v_cmp_gt_i32_e32 vcc_lo, 1, v10
	s_wait_alu 0xfffd
	s_delay_alu instid0(VALU_DEP_2) | instskip(SKIP_2) | instid1(VALU_DEP_3)
	v_dual_cndmask_b32 v4, v12, v4 :: v_dual_and_b32 v11, 7, v9
	v_cmp_ne_u32_e32 vcc_lo, 0, v2
	v_lshrrev_b32_e32 v9, 2, v9
	v_cmp_eq_u32_e64 s0, 3, v11
	s_delay_alu instid0(VALU_DEP_4)
	v_and_b32_e32 v12, 7, v4
	s_wait_alu 0xfffd
	v_cndmask_b32_e64 v2, 0, 1, vcc_lo
	v_cmp_ne_u32_e32 vcc_lo, 0, v6
	v_lshrrev_b32_e32 v4, 2, v4
	v_cmp_lt_i32_e64 s1, 5, v12
	v_cmp_eq_u32_e64 s2, 3, v12
	s_wait_alu 0xfffd
	v_cndmask_b32_e64 v6, 0, 1, vcc_lo
	v_cmp_lt_i32_e32 vcc_lo, 5, v11
	v_lshl_or_b32 v2, v2, 9, 0x7c00
	s_delay_alu instid0(VALU_DEP_3)
	v_lshl_or_b32 v6, v6, 9, 0x7c00
	s_or_b32 vcc_lo, s0, vcc_lo
	s_wait_alu 0xfffe
	v_add_co_ci_u32_e32 v9, vcc_lo, 0, v9, vcc_lo
	s_or_b32 vcc_lo, s2, s1
	s_wait_alu 0xfffe
	v_add_co_ci_u32_e32 v4, vcc_lo, 0, v4, vcc_lo
	v_cmp_gt_i32_e32 vcc_lo, 31, v8
	s_wait_alu 0xfffd
	v_cndmask_b32_e32 v9, 0x7c00, v9, vcc_lo
	v_cmp_gt_i32_e32 vcc_lo, 31, v10
	s_wait_alu 0xfffd
	v_cndmask_b32_e32 v4, 0x7c00, v4, vcc_lo
	v_cmp_eq_u32_e32 vcc_lo, 0x40f, v8
	s_wait_alu 0xfffd
	v_cndmask_b32_e32 v2, v9, v2, vcc_lo
	v_cmp_eq_u32_e32 vcc_lo, 0x40f, v10
	s_delay_alu instid0(VALU_DEP_2)
	v_and_or_b32 v2, 0x8000, v5, v2
	s_wait_alu 0xfffd
	v_cndmask_b32_e32 v4, v4, v6, vcc_lo
	v_add_co_u32 v0, vcc_lo, v0, s4
	s_wait_alu 0xfffd
	v_add_co_ci_u32_e32 v1, vcc_lo, s5, v1, vcc_lo
	s_delay_alu instid0(VALU_DEP_3) | instskip(SKIP_1) | instid1(VALU_DEP_1)
	v_and_or_b32 v4, 0x8000, v7, v4
	v_and_b32_e32 v2, 0xffff, v2
	v_lshl_or_b32 v2, v4, 16, v2
	v_lshrrev_b32_e32 v4, 16, v3
	global_store_b32 v[0:1], v2, off
	global_load_b32 v2, v45, s[8:9] offset:2880
	s_wait_loadcnt 0x0
	v_lshrrev_b32_e32 v5, 16, v2
	s_delay_alu instid0(VALU_DEP_1) | instskip(SKIP_1) | instid1(VALU_DEP_2)
	v_mul_f16_e32 v6, v4, v5
	v_mul_f16_e32 v5, v3, v5
	v_fmac_f16_e32 v6, v3, v2
	s_delay_alu instid0(VALU_DEP_2) | instskip(NEXT) | instid1(VALU_DEP_2)
	v_fma_f16 v2, v2, v4, -v5
	v_cvt_f32_f16_e32 v3, v6
	s_delay_alu instid0(VALU_DEP_2) | instskip(NEXT) | instid1(VALU_DEP_2)
	v_cvt_f32_f16_e32 v4, v2
	v_cvt_f64_f32_e32 v[2:3], v3
	s_delay_alu instid0(VALU_DEP_2) | instskip(NEXT) | instid1(VALU_DEP_2)
	v_cvt_f64_f32_e32 v[4:5], v4
	v_mul_f64_e32 v[2:3], s[10:11], v[2:3]
	s_delay_alu instid0(VALU_DEP_2) | instskip(NEXT) | instid1(VALU_DEP_2)
	v_mul_f64_e32 v[4:5], s[10:11], v[4:5]
	v_and_or_b32 v2, 0x1ff, v3, v2
	s_delay_alu instid0(VALU_DEP_2)
	v_and_or_b32 v4, 0x1ff, v5, v4
	v_lshrrev_b32_e32 v6, 8, v3
	v_bfe_u32 v7, v3, 20, 11
	v_lshrrev_b32_e32 v8, 8, v5
	v_cmp_ne_u32_e32 vcc_lo, 0, v2
	v_bfe_u32 v9, v5, 20, 11
	v_lshrrev_b32_e32 v3, 16, v3
	v_sub_nc_u32_e32 v10, 0x3f1, v7
	v_add_nc_u32_e32 v7, 0xfffffc10, v7
	s_wait_alu 0xfffd
	v_cndmask_b32_e64 v2, 0, 1, vcc_lo
	v_cmp_ne_u32_e32 vcc_lo, 0, v4
	v_lshrrev_b32_e32 v5, 16, v5
	s_delay_alu instid0(VALU_DEP_3) | instskip(SKIP_4) | instid1(VALU_DEP_3)
	v_and_or_b32 v2, 0xffe, v6, v2
	s_wait_alu 0xfffd
	v_cndmask_b32_e64 v4, 0, 1, vcc_lo
	v_sub_nc_u32_e32 v6, 0x3f1, v9
	v_add_nc_u32_e32 v9, 0xfffffc10, v9
	v_and_or_b32 v4, 0xffe, v8, v4
	v_med3_i32 v8, v10, 0, 13
	v_or_b32_e32 v10, 0x1000, v2
	v_med3_i32 v6, v6, 0, 13
	s_delay_alu instid0(VALU_DEP_4) | instskip(NEXT) | instid1(VALU_DEP_3)
	v_or_b32_e32 v11, 0x1000, v4
	v_lshrrev_b32_e32 v12, v8, v10
	s_delay_alu instid0(VALU_DEP_2) | instskip(NEXT) | instid1(VALU_DEP_2)
	v_lshrrev_b32_e32 v13, v6, v11
	v_lshlrev_b32_e32 v8, v8, v12
	s_delay_alu instid0(VALU_DEP_2) | instskip(NEXT) | instid1(VALU_DEP_2)
	v_lshlrev_b32_e32 v6, v6, v13
	v_cmp_ne_u32_e32 vcc_lo, v8, v10
	v_lshl_or_b32 v10, v7, 12, v2
	s_wait_alu 0xfffd
	v_cndmask_b32_e64 v8, 0, 1, vcc_lo
	v_cmp_ne_u32_e32 vcc_lo, v6, v11
	v_lshl_or_b32 v11, v9, 12, v4
	s_delay_alu instid0(VALU_DEP_3) | instskip(SKIP_3) | instid1(VALU_DEP_2)
	v_or_b32_e32 v8, v12, v8
	s_wait_alu 0xfffd
	v_cndmask_b32_e64 v6, 0, 1, vcc_lo
	v_cmp_gt_i32_e32 vcc_lo, 1, v7
	v_or_b32_e32 v6, v13, v6
	s_wait_alu 0xfffd
	v_cndmask_b32_e32 v8, v10, v8, vcc_lo
	v_cmp_gt_i32_e32 vcc_lo, 1, v9
	s_delay_alu instid0(VALU_DEP_2)
	v_and_b32_e32 v10, 7, v8
	s_wait_alu 0xfffd
	v_cndmask_b32_e32 v6, v11, v6, vcc_lo
	v_cmp_ne_u32_e32 vcc_lo, 0, v2
	v_lshrrev_b32_e32 v8, 2, v8
	v_cmp_eq_u32_e64 s0, 3, v10
	s_delay_alu instid0(VALU_DEP_4)
	v_and_b32_e32 v11, 7, v6
	s_wait_alu 0xfffd
	v_cndmask_b32_e64 v2, 0, 1, vcc_lo
	v_cmp_ne_u32_e32 vcc_lo, 0, v4
	v_lshrrev_b32_e32 v6, 2, v6
	v_cmp_lt_i32_e64 s1, 5, v11
	v_cmp_eq_u32_e64 s2, 3, v11
	s_wait_alu 0xfffd
	v_cndmask_b32_e64 v4, 0, 1, vcc_lo
	v_cmp_lt_i32_e32 vcc_lo, 5, v10
	v_lshl_or_b32 v2, v2, 9, 0x7c00
	s_delay_alu instid0(VALU_DEP_3)
	v_lshl_or_b32 v4, v4, 9, 0x7c00
	s_or_b32 vcc_lo, s0, vcc_lo
	s_wait_alu 0xfffe
	v_add_co_ci_u32_e32 v8, vcc_lo, 0, v8, vcc_lo
	s_or_b32 vcc_lo, s2, s1
	s_wait_alu 0xfffe
	v_add_co_ci_u32_e32 v6, vcc_lo, 0, v6, vcc_lo
	v_cmp_gt_i32_e32 vcc_lo, 31, v7
	s_wait_alu 0xfffd
	v_cndmask_b32_e32 v8, 0x7c00, v8, vcc_lo
	v_cmp_gt_i32_e32 vcc_lo, 31, v9
	s_wait_alu 0xfffd
	v_cndmask_b32_e32 v6, 0x7c00, v6, vcc_lo
	v_cmp_eq_u32_e32 vcc_lo, 0x40f, v7
	s_wait_alu 0xfffd
	v_cndmask_b32_e32 v2, v8, v2, vcc_lo
	v_cmp_eq_u32_e32 vcc_lo, 0x40f, v9
	s_delay_alu instid0(VALU_DEP_2)
	v_and_or_b32 v2, 0x8000, v3, v2
	s_wait_alu 0xfffd
	v_cndmask_b32_e32 v4, v6, v4, vcc_lo
	v_add_co_u32 v0, vcc_lo, v0, s4
	s_wait_alu 0xfffd
	v_add_co_ci_u32_e32 v1, vcc_lo, s5, v1, vcc_lo
	v_and_b32_e32 v2, 0xffff, v2
	v_and_or_b32 v3, 0x8000, v5, v4
	s_delay_alu instid0(VALU_DEP_1)
	v_lshl_or_b32 v2, v3, 16, v2
	global_store_b32 v[0:1], v2, off
.LBB0_15:
	s_nop 0
	s_sendmsg sendmsg(MSG_DEALLOC_VGPRS)
	s_endpgm
	.section	.rodata,"a",@progbits
	.p2align	6, 0x0
	.amdhsa_kernel bluestein_single_fwd_len765_dim1_half_op_CI_CI
		.amdhsa_group_segment_fixed_size 15300
		.amdhsa_private_segment_fixed_size 0
		.amdhsa_kernarg_size 104
		.amdhsa_user_sgpr_count 2
		.amdhsa_user_sgpr_dispatch_ptr 0
		.amdhsa_user_sgpr_queue_ptr 0
		.amdhsa_user_sgpr_kernarg_segment_ptr 1
		.amdhsa_user_sgpr_dispatch_id 0
		.amdhsa_user_sgpr_private_segment_size 0
		.amdhsa_wavefront_size32 1
		.amdhsa_uses_dynamic_stack 0
		.amdhsa_enable_private_segment 0
		.amdhsa_system_sgpr_workgroup_id_x 1
		.amdhsa_system_sgpr_workgroup_id_y 0
		.amdhsa_system_sgpr_workgroup_id_z 0
		.amdhsa_system_sgpr_workgroup_info 0
		.amdhsa_system_vgpr_workitem_id 0
		.amdhsa_next_free_vgpr 225
		.amdhsa_next_free_sgpr 14
		.amdhsa_reserve_vcc 1
		.amdhsa_float_round_mode_32 0
		.amdhsa_float_round_mode_16_64 0
		.amdhsa_float_denorm_mode_32 3
		.amdhsa_float_denorm_mode_16_64 3
		.amdhsa_fp16_overflow 0
		.amdhsa_workgroup_processor_mode 1
		.amdhsa_memory_ordered 1
		.amdhsa_forward_progress 0
		.amdhsa_round_robin_scheduling 0
		.amdhsa_exception_fp_ieee_invalid_op 0
		.amdhsa_exception_fp_denorm_src 0
		.amdhsa_exception_fp_ieee_div_zero 0
		.amdhsa_exception_fp_ieee_overflow 0
		.amdhsa_exception_fp_ieee_underflow 0
		.amdhsa_exception_fp_ieee_inexact 0
		.amdhsa_exception_int_div_zero 0
	.end_amdhsa_kernel
	.text
.Lfunc_end0:
	.size	bluestein_single_fwd_len765_dim1_half_op_CI_CI, .Lfunc_end0-bluestein_single_fwd_len765_dim1_half_op_CI_CI
                                        ; -- End function
	.section	.AMDGPU.csdata,"",@progbits
; Kernel info:
; codeLenInByte = 36340
; NumSgprs: 16
; NumVgprs: 225
; ScratchSize: 0
; MemoryBound: 0
; FloatMode: 240
; IeeeMode: 1
; LDSByteSize: 15300 bytes/workgroup (compile time only)
; SGPRBlocks: 1
; VGPRBlocks: 28
; NumSGPRsForWavesPerEU: 16
; NumVGPRsForWavesPerEU: 225
; Occupancy: 6
; WaveLimiterHint : 1
; COMPUTE_PGM_RSRC2:SCRATCH_EN: 0
; COMPUTE_PGM_RSRC2:USER_SGPR: 2
; COMPUTE_PGM_RSRC2:TRAP_HANDLER: 0
; COMPUTE_PGM_RSRC2:TGID_X_EN: 1
; COMPUTE_PGM_RSRC2:TGID_Y_EN: 0
; COMPUTE_PGM_RSRC2:TGID_Z_EN: 0
; COMPUTE_PGM_RSRC2:TIDIG_COMP_CNT: 0
	.text
	.p2alignl 7, 3214868480
	.fill 96, 4, 3214868480
	.type	__hip_cuid_d2c922abba292152,@object ; @__hip_cuid_d2c922abba292152
	.section	.bss,"aw",@nobits
	.globl	__hip_cuid_d2c922abba292152
__hip_cuid_d2c922abba292152:
	.byte	0                               ; 0x0
	.size	__hip_cuid_d2c922abba292152, 1

	.ident	"AMD clang version 19.0.0git (https://github.com/RadeonOpenCompute/llvm-project roc-6.4.0 25133 c7fe45cf4b819c5991fe208aaa96edf142730f1d)"
	.section	".note.GNU-stack","",@progbits
	.addrsig
	.addrsig_sym __hip_cuid_d2c922abba292152
	.amdgpu_metadata
---
amdhsa.kernels:
  - .args:
      - .actual_access:  read_only
        .address_space:  global
        .offset:         0
        .size:           8
        .value_kind:     global_buffer
      - .actual_access:  read_only
        .address_space:  global
        .offset:         8
        .size:           8
        .value_kind:     global_buffer
      - .actual_access:  read_only
        .address_space:  global
        .offset:         16
        .size:           8
        .value_kind:     global_buffer
      - .actual_access:  read_only
        .address_space:  global
        .offset:         24
        .size:           8
        .value_kind:     global_buffer
      - .actual_access:  read_only
        .address_space:  global
        .offset:         32
        .size:           8
        .value_kind:     global_buffer
      - .offset:         40
        .size:           8
        .value_kind:     by_value
      - .address_space:  global
        .offset:         48
        .size:           8
        .value_kind:     global_buffer
      - .address_space:  global
        .offset:         56
        .size:           8
        .value_kind:     global_buffer
      - .address_space:  global
        .offset:         64
        .size:           8
        .value_kind:     global_buffer
      - .address_space:  global
        .offset:         72
        .size:           8
        .value_kind:     global_buffer
      - .offset:         80
        .size:           4
        .value_kind:     by_value
      - .address_space:  global
        .offset:         88
        .size:           8
        .value_kind:     global_buffer
      - .address_space:  global
        .offset:         96
        .size:           8
        .value_kind:     global_buffer
    .group_segment_fixed_size: 15300
    .kernarg_segment_align: 8
    .kernarg_segment_size: 104
    .language:       OpenCL C
    .language_version:
      - 2
      - 0
    .max_flat_workgroup_size: 255
    .name:           bluestein_single_fwd_len765_dim1_half_op_CI_CI
    .private_segment_fixed_size: 0
    .sgpr_count:     16
    .sgpr_spill_count: 0
    .symbol:         bluestein_single_fwd_len765_dim1_half_op_CI_CI.kd
    .uniform_work_group_size: 1
    .uses_dynamic_stack: false
    .vgpr_count:     225
    .vgpr_spill_count: 0
    .wavefront_size: 32
    .workgroup_processor_mode: 1
amdhsa.target:   amdgcn-amd-amdhsa--gfx1201
amdhsa.version:
  - 1
  - 2
...

	.end_amdgpu_metadata
